;; amdgpu-corpus repo=ROCm/rocFFT kind=compiled arch=gfx906 opt=O3
	.text
	.amdgcn_target "amdgcn-amd-amdhsa--gfx906"
	.amdhsa_code_object_version 6
	.protected	bluestein_single_fwd_len1200_dim1_dp_op_CI_CI ; -- Begin function bluestein_single_fwd_len1200_dim1_dp_op_CI_CI
	.globl	bluestein_single_fwd_len1200_dim1_dp_op_CI_CI
	.p2align	8
	.type	bluestein_single_fwd_len1200_dim1_dp_op_CI_CI,@function
bluestein_single_fwd_len1200_dim1_dp_op_CI_CI: ; @bluestein_single_fwd_len1200_dim1_dp_op_CI_CI
; %bb.0:
	v_mul_u32_u24_e32 v1, 0x36a, v0
	s_mov_b64 s[30:31], s[2:3]
	s_load_dwordx4 s[12:15], s[4:5], 0x28
	v_lshrrev_b32_e32 v1, 16, v1
	s_mov_b64 s[28:29], s[0:1]
	v_mad_u64_u32 v[7:8], s[0:1], s6, 3, v[1:2]
	v_mov_b32_e32 v8, 0
	s_add_u32 s28, s28, s7
	s_waitcnt lgkmcnt(0)
	v_cmp_gt_u64_e32 vcc, s[12:13], v[7:8]
	s_addc_u32 s29, s29, 0
	s_and_saveexec_b64 s[0:1], vcc
	s_cbranch_execz .LBB0_31
; %bb.1:
	s_load_dwordx4 s[0:3], s[4:5], 0x18
	s_load_dwordx2 s[16:17], s[4:5], 0x0
	v_mul_lo_u16_e32 v1, 0x4b, v1
	v_sub_u16_e32 v93, v0, v1
	v_lshlrev_b32_e32 v88, 4, v93
	s_waitcnt lgkmcnt(0)
	s_load_dwordx4 s[8:11], s[0:1], 0x0
	v_add_co_u32_e64 v82, s[6:7], s16, v88
	v_mov_b32_e32 v74, v7
	v_mov_b32_e32 v73, v74
	s_waitcnt lgkmcnt(0)
	v_mad_u64_u32 v[0:1], s[0:1], s10, v7, 0
	v_mad_u64_u32 v[2:3], s[0:1], s8, v93, 0
	;; [unrolled: 1-line block ×4, first 2 shown]
	v_mov_b32_e32 v1, v4
	v_lshlrev_b64 v[0:1], 4, v[0:1]
	v_mov_b32_e32 v3, v5
	v_mov_b32_e32 v6, s15
	v_lshlrev_b64 v[2:3], 4, v[2:3]
	v_add_co_u32_e32 v0, vcc, s14, v0
	v_addc_co_u32_e32 v1, vcc, v6, v1, vcc
	s_mul_i32 s0, s9, 0xf0
	s_mul_hi_u32 s1, s8, 0xf0
	v_add_co_u32_e32 v0, vcc, v0, v2
	v_mov_b32_e32 v2, s17
	s_add_i32 s1, s1, s0
	s_mul_i32 s0, s8, 0xf0
	v_addc_co_u32_e32 v1, vcc, v1, v3, vcc
	v_addc_co_u32_e64 v83, vcc, 0, v2, s[6:7]
	s_lshl_b64 s[14:15], s[0:1], 4
	v_mov_b32_e32 v66, s15
	v_add_co_u32_e32 v2, vcc, s14, v0
	v_addc_co_u32_e32 v3, vcc, v1, v66, vcc
	global_load_dwordx4 v[10:13], v[0:1], off
	global_load_dwordx4 v[14:17], v[2:3], off
	global_load_dwordx4 v[89:92], v88, s[16:17] offset:3840
	v_add_co_u32_e32 v0, vcc, s14, v2
	v_addc_co_u32_e32 v1, vcc, v3, v66, vcc
	s_movk_i32 s0, 0x1000
	v_add_co_u32_e32 v2, vcc, s0, v82
	v_addc_co_u32_e32 v3, vcc, 0, v83, vcc
	v_add_co_u32_e32 v4, vcc, s14, v0
	v_addc_co_u32_e32 v5, vcc, v1, v66, vcc
	s_movk_i32 s0, 0x2000
	global_load_dwordx4 v[18:21], v[0:1], off
	v_add_co_u32_e32 v0, vcc, s0, v82
	v_addc_co_u32_e32 v1, vcc, 0, v83, vcc
	v_add_co_u32_e32 v6, vcc, s14, v4
	v_addc_co_u32_e32 v7, vcc, v5, v66, vcc
	s_movk_i32 s0, 0x3000
	s_mul_hi_u32 s1, s8, 0xfffffc8b
	global_load_dwordx4 v[22:25], v[4:5], off
	global_load_dwordx4 v[26:29], v[6:7], off
	v_add_co_u32_e32 v4, vcc, s0, v82
	s_mul_i32 s0, s9, 0xfffffc8b
	s_sub_i32 s1, s1, s8
	s_add_i32 s1, s1, s0
	s_mul_i32 s0, s8, 0xfffffc8b
	v_addc_co_u32_e32 v5, vcc, 0, v83, vcc
	s_lshl_b64 s[18:19], s[0:1], 4
	v_mov_b32_e32 v50, s19
	v_add_co_u32_e32 v6, vcc, s18, v6
	v_addc_co_u32_e32 v7, vcc, v7, v50, vcc
	global_load_dwordx4 v[98:101], v[2:3], off offset:3584
	global_load_dwordx4 v[94:97], v[0:1], off offset:3328
	;; [unrolled: 1-line block ×3, first 2 shown]
	global_load_dwordx4 v[146:149], v88, s[16:17]
	global_load_dwordx4 v[30:33], v[6:7], off
	global_load_dwordx4 v[106:109], v88, s[16:17] offset:1200
	v_add_co_u32_e32 v6, vcc, s14, v6
	v_addc_co_u32_e32 v7, vcc, v7, v66, vcc
	global_load_dwordx4 v[34:37], v[6:7], off
	global_load_dwordx4 v[110:113], v[2:3], off offset:944
	v_add_co_u32_e32 v6, vcc, s14, v6
	v_addc_co_u32_e32 v7, vcc, v7, v66, vcc
	global_load_dwordx4 v[38:41], v[6:7], off
	global_load_dwordx4 v[118:121], v[0:1], off offset:688
	v_add_co_u32_e32 v6, vcc, s14, v6
	v_addc_co_u32_e32 v7, vcc, v7, v66, vcc
	v_add_co_u32_e32 v8, vcc, s14, v6
	v_addc_co_u32_e32 v9, vcc, v7, v66, vcc
	s_movk_i32 s0, 0x4000
	global_load_dwordx4 v[42:45], v[6:7], off
	global_load_dwordx4 v[114:117], v[4:5], off offset:432
	v_add_co_u32_e32 v6, vcc, s0, v82
	v_addc_co_u32_e32 v7, vcc, 0, v83, vcc
	global_load_dwordx4 v[46:49], v[8:9], off
	v_add_co_u32_e32 v8, vcc, s18, v8
	v_addc_co_u32_e32 v9, vcc, v9, v50, vcc
	global_load_dwordx4 v[122:125], v[6:7], off offset:176
	global_load_dwordx4 v[50:53], v[8:9], off
	global_load_dwordx4 v[126:129], v88, s[16:17] offset:2400
	v_add_co_u32_e32 v8, vcc, s14, v8
	v_addc_co_u32_e32 v9, vcc, v9, v66, vcc
	global_load_dwordx4 v[54:57], v[8:9], off
	global_load_dwordx4 v[134:137], v[2:3], off offset:2144
	v_add_co_u32_e32 v8, vcc, s14, v8
	v_addc_co_u32_e32 v9, vcc, v9, v66, vcc
	global_load_dwordx4 v[58:61], v[8:9], off
	global_load_dwordx4 v[130:133], v[0:1], off offset:1888
	;; [unrolled: 4-line block ×3, first 2 shown]
	v_add_co_u32_e32 v8, vcc, s14, v8
	v_addc_co_u32_e32 v9, vcc, v9, v66, vcc
	s_mov_b32 s0, 0xaaaaaaab
	global_load_dwordx4 v[66:69], v[8:9], off
	global_load_dwordx4 v[142:145], v[6:7], off offset:1376
	v_mul_hi_u32 v70, v74, s0
	s_load_dwordx2 s[12:13], s[4:5], 0x38
	s_load_dwordx4 s[8:11], s[2:3], 0x0
	buffer_store_dword v73, off, s[28:31], 0 offset:36 ; 4-byte Folded Spill
	s_nop 0
	buffer_store_dword v74, off, s[28:31], 0 offset:40 ; 4-byte Folded Spill
	s_waitcnt vmcnt(29)
	v_mul_f64 v[76:77], v[14:15], v[91:92]
	v_lshrrev_b32_e32 v70, 1, v70
	v_lshl_add_u32 v72, v70, 1, v70
	v_cmp_gt_u16_e64 s[0:1], 15, v93
	s_waitcnt vmcnt(25)
	v_mul_f64 v[78:79], v[20:21], v[100:101]
	s_waitcnt vmcnt(22)
	v_mul_f64 v[70:71], v[12:13], v[148:149]
	v_mul_f64 v[80:81], v[18:19], v[100:101]
	v_fma_f64 v[18:19], v[18:19], v[98:99], v[78:79]
	s_waitcnt vmcnt(20)
	v_mul_f64 v[78:79], v[32:33], v[108:109]
	s_waitcnt vmcnt(18)
	v_mul_f64 v[86:87], v[34:35], v[112:113]
	v_sub_u32_e32 v84, v74, v72
	v_mul_f64 v[74:75], v[16:17], v[91:92]
	v_mul_f64 v[72:73], v[10:11], v[148:149]
	v_fma_f64 v[10:11], v[10:11], v[146:147], v[70:71]
	buffer_store_dword v146, off, s[28:31], 0 offset:236 ; 4-byte Folded Spill
	s_nop 0
	buffer_store_dword v147, off, s[28:31], 0 offset:240 ; 4-byte Folded Spill
	buffer_store_dword v148, off, s[28:31], 0 offset:244 ; 4-byte Folded Spill
	;; [unrolled: 1-line block ×3, first 2 shown]
	v_mul_f64 v[70:71], v[24:25], v[96:97]
	v_mul_u32_u24_e32 v84, 0x4b0, v84
	v_lshlrev_b32_e32 v196, 4, v84
	v_mul_f64 v[84:85], v[36:37], v[112:113]
	v_fma_f64 v[14:15], v[14:15], v[89:90], v[74:75]
	buffer_store_dword v89, off, s[28:31], 0 offset:4 ; 4-byte Folded Spill
	s_nop 0
	buffer_store_dword v90, off, s[28:31], 0 offset:8 ; 4-byte Folded Spill
	buffer_store_dword v91, off, s[28:31], 0 offset:12 ; 4-byte Folded Spill
	;; [unrolled: 1-line block ×4, first 2 shown]
	s_nop 0
	buffer_store_dword v99, off, s[28:31], 0 offset:48 ; 4-byte Folded Spill
	buffer_store_dword v100, off, s[28:31], 0 offset:52 ; 4-byte Folded Spill
	;; [unrolled: 1-line block ×3, first 2 shown]
	v_mul_f64 v[74:75], v[28:29], v[104:105]
	v_add_u32_e32 v92, v88, v196
	v_fma_f64 v[34:35], v[34:35], v[110:111], v[84:85]
	v_fma_f64 v[12:13], v[12:13], v[146:147], -v[72:73]
	v_mul_f64 v[72:73], v[22:23], v[96:97]
	v_fma_f64 v[22:23], v[22:23], v[94:95], v[70:71]
	buffer_store_dword v94, off, s[28:31], 0 offset:20 ; 4-byte Folded Spill
	s_nop 0
	buffer_store_dword v95, off, s[28:31], 0 offset:24 ; 4-byte Folded Spill
	buffer_store_dword v96, off, s[28:31], 0 offset:28 ; 4-byte Folded Spill
	buffer_store_dword v97, off, s[28:31], 0 offset:32 ; 4-byte Folded Spill
	v_fma_f64 v[16:17], v[16:17], v[89:90], -v[76:77]
	v_mul_f64 v[76:77], v[26:27], v[104:105]
	v_fma_f64 v[26:27], v[26:27], v[102:103], v[74:75]
	buffer_store_dword v102, off, s[28:31], 0 offset:60 ; 4-byte Folded Spill
	s_nop 0
	buffer_store_dword v103, off, s[28:31], 0 offset:64 ; 4-byte Folded Spill
	buffer_store_dword v104, off, s[28:31], 0 offset:68 ; 4-byte Folded Spill
	buffer_store_dword v105, off, s[28:31], 0 offset:72 ; 4-byte Folded Spill
	;; [unrolled: 8-line block ×3, first 2 shown]
	buffer_store_dword v110, off, s[28:31], 0 offset:92 ; 4-byte Folded Spill
	s_nop 0
	buffer_store_dword v111, off, s[28:31], 0 offset:96 ; 4-byte Folded Spill
	buffer_store_dword v112, off, s[28:31], 0 offset:100 ; 4-byte Folded Spill
	;; [unrolled: 1-line block ×3, first 2 shown]
	v_fma_f64 v[24:25], v[24:25], v[94:95], -v[72:73]
	v_fma_f64 v[28:29], v[28:29], v[102:103], -v[76:77]
	;; [unrolled: 1-line block ×4, first 2 shown]
	ds_write_b128 v92, v[10:13]
	ds_write_b128 v92, v[14:17] offset:3840
	ds_write_b128 v92, v[18:21] offset:7680
	;; [unrolled: 1-line block ×6, first 2 shown]
	s_waitcnt vmcnt(44)
	v_mul_f64 v[10:11], v[40:41], v[120:121]
	v_mul_f64 v[12:13], v[38:39], v[120:121]
	s_waitcnt vmcnt(42)
	v_mul_f64 v[14:15], v[44:45], v[116:117]
	s_waitcnt vmcnt(40)
	;; [unrolled: 2-line block ×6, first 2 shown]
	v_mul_f64 v[34:35], v[64:65], v[140:141]
	v_fma_f64 v[10:11], v[38:39], v[118:119], v[10:11]
	buffer_store_dword v118, off, s[28:31], 0 offset:124 ; 4-byte Folded Spill
	s_nop 0
	buffer_store_dword v119, off, s[28:31], 0 offset:128 ; 4-byte Folded Spill
	buffer_store_dword v120, off, s[28:31], 0 offset:132 ; 4-byte Folded Spill
	;; [unrolled: 1-line block ×3, first 2 shown]
	s_waitcnt vmcnt(34)
	v_mul_f64 v[38:39], v[68:69], v[144:145]
	v_mul_f64 v[16:17], v[42:43], v[116:117]
	v_fma_f64 v[14:15], v[42:43], v[114:115], v[14:15]
	buffer_store_dword v114, off, s[28:31], 0 offset:108 ; 4-byte Folded Spill
	s_nop 0
	buffer_store_dword v115, off, s[28:31], 0 offset:112 ; 4-byte Folded Spill
	buffer_store_dword v116, off, s[28:31], 0 offset:116 ; 4-byte Folded Spill
	buffer_store_dword v117, off, s[28:31], 0 offset:120 ; 4-byte Folded Spill
	v_mul_f64 v[20:21], v[46:47], v[124:125]
	v_fma_f64 v[18:19], v[46:47], v[122:123], v[18:19]
	buffer_store_dword v122, off, s[28:31], 0 offset:140 ; 4-byte Folded Spill
	s_nop 0
	buffer_store_dword v123, off, s[28:31], 0 offset:144 ; 4-byte Folded Spill
	buffer_store_dword v124, off, s[28:31], 0 offset:148 ; 4-byte Folded Spill
	buffer_store_dword v125, off, s[28:31], 0 offset:152 ; 4-byte Folded Spill
	;; [unrolled: 7-line block ×6, first 2 shown]
	v_fma_f64 v[38:39], v[66:67], v[142:143], v[38:39]
	v_fma_f64 v[12:13], v[40:41], v[118:119], -v[12:13]
	v_mul_f64 v[40:41], v[66:67], v[144:145]
	buffer_store_dword v142, off, s[28:31], 0 offset:220 ; 4-byte Folded Spill
	s_nop 0
	buffer_store_dword v143, off, s[28:31], 0 offset:224 ; 4-byte Folded Spill
	buffer_store_dword v144, off, s[28:31], 0 offset:228 ; 4-byte Folded Spill
	;; [unrolled: 1-line block ×3, first 2 shown]
	v_fma_f64 v[16:17], v[44:45], v[114:115], -v[16:17]
	v_fma_f64 v[20:21], v[48:49], v[122:123], -v[20:21]
	;; [unrolled: 1-line block ×7, first 2 shown]
	ds_write_b128 v92, v[10:13] offset:8880
	ds_write_b128 v92, v[14:17] offset:12720
	;; [unrolled: 1-line block ×8, first 2 shown]
	s_and_saveexec_b64 s[2:3], s[0:1]
	s_cbranch_execz .LBB0_3
; %bb.2:
	v_mov_b32_e32 v10, s19
	v_add_co_u32_e32 v12, vcc, s18, v8
	v_addc_co_u32_e32 v13, vcc, v9, v10, vcc
	v_mov_b32_e32 v40, s15
	v_add_co_u32_e32 v24, vcc, s14, v12
	v_addc_co_u32_e32 v25, vcc, v13, v40, vcc
	global_load_dwordx4 v[8:11], v[12:13], off
	s_nop 0
	global_load_dwordx4 v[12:15], v[24:25], off
	global_load_dwordx4 v[16:19], v[82:83], off offset:3600
	global_load_dwordx4 v[20:23], v[2:3], off offset:3344
	v_add_co_u32_e32 v2, vcc, s14, v24
	v_addc_co_u32_e32 v3, vcc, v25, v40, vcc
	global_load_dwordx4 v[24:27], v[2:3], off
	v_add_co_u32_e32 v2, vcc, s14, v2
	v_addc_co_u32_e32 v3, vcc, v3, v40, vcc
	global_load_dwordx4 v[28:31], v[2:3], off
	global_load_dwordx4 v[32:35], v[0:1], off offset:3088
	global_load_dwordx4 v[36:39], v[4:5], off offset:2832
	v_add_co_u32_e32 v4, vcc, s14, v2
	v_addc_co_u32_e32 v5, vcc, v3, v40, vcc
	global_load_dwordx4 v[0:3], v[6:7], off offset:2576
	global_load_dwordx4 v[40:43], v[4:5], off
	s_waitcnt vmcnt(7)
	v_mul_f64 v[4:5], v[10:11], v[18:19]
	v_mul_f64 v[6:7], v[8:9], v[18:19]
	s_waitcnt vmcnt(6)
	v_mul_f64 v[18:19], v[14:15], v[22:23]
	v_mul_f64 v[22:23], v[12:13], v[22:23]
	;; [unrolled: 3-line block ×5, first 2 shown]
	v_fma_f64 v[2:3], v[8:9], v[16:17], v[4:5]
	v_fma_f64 v[4:5], v[10:11], v[16:17], -v[6:7]
	v_fma_f64 v[6:7], v[12:13], v[20:21], v[18:19]
	v_fma_f64 v[8:9], v[14:15], v[20:21], -v[22:23]
	;; [unrolled: 2-line block ×5, first 2 shown]
	ds_write_b128 v92, v[2:5] offset:3600
	ds_write_b128 v92, v[6:9] offset:7440
	;; [unrolled: 1-line block ×5, first 2 shown]
.LBB0_3:
	s_or_b64 exec, exec, s[2:3]
	s_waitcnt vmcnt(0) lgkmcnt(0)
	s_barrier
	ds_read_b128 v[78:81], v92
	ds_read_b128 v[58:61], v92 offset:1200
	ds_read_b128 v[66:69], v92 offset:7680
	;; [unrolled: 1-line block ×14, first 2 shown]
                                        ; implicit-def: $vgpr0_vgpr1
                                        ; implicit-def: $vgpr6_vgpr7
                                        ; implicit-def: $vgpr10_vgpr11
                                        ; implicit-def: $vgpr14_vgpr15
                                        ; implicit-def: $vgpr18_vgpr19
	s_and_saveexec_b64 s[2:3], s[0:1]
	s_cbranch_execz .LBB0_5
; %bb.4:
	ds_read_b128 v[0:3], v92 offset:3600
	ds_read_b128 v[6:9], v92 offset:7440
	;; [unrolled: 1-line block ×5, first 2 shown]
.LBB0_5:
	s_or_b64 exec, exec, s[2:3]
	s_waitcnt lgkmcnt(8)
	v_add_f64 v[4:5], v[78:79], v[70:71]
	s_waitcnt lgkmcnt(4)
	v_add_f64 v[84:85], v[66:67], v[74:75]
	v_add_f64 v[86:87], v[72:73], -v[64:65]
	v_add_f64 v[100:101], v[70:71], v[62:63]
	s_mov_b32 s2, 0x134454ff
	s_mov_b32 s3, 0x3fee6f0e
	v_add_f64 v[90:91], v[68:69], -v[76:77]
	v_add_f64 v[96:97], v[70:71], -v[66:67]
	v_add_f64 v[4:5], v[4:5], v[66:67]
	v_fma_f64 v[88:89], v[84:85], -0.5, v[78:79]
	v_add_f64 v[98:99], v[62:63], -v[74:75]
	s_movk_i32 s14, 0x4b
	s_movk_i32 s15, 0x96
	v_add_co_u32_e32 v185, vcc, s14, v93
	v_add_co_u32_e32 v184, vcc, s15, v93
	v_add_f64 v[4:5], v[4:5], v[74:75]
	v_fma_f64 v[102:103], v[86:87], s[2:3], v[88:89]
	s_mov_b32 s14, 0x4755a5e
	s_mov_b32 s15, 0x3fe2cf23
	;; [unrolled: 1-line block ×4, first 2 shown]
	v_add_f64 v[96:97], v[96:97], v[98:99]
	v_add_f64 v[98:99], v[68:69], v[76:77]
	;; [unrolled: 1-line block ×3, first 2 shown]
	v_fma_f64 v[4:5], v[100:101], -0.5, v[78:79]
	v_fma_f64 v[78:79], v[90:91], s[14:15], v[102:103]
	v_fma_f64 v[88:89], v[86:87], s[18:19], v[88:89]
	v_add_f64 v[102:103], v[66:67], -v[70:71]
	v_add_f64 v[104:105], v[74:75], -v[62:63]
	s_mov_b32 s21, 0xbfe2cf23
	s_mov_b32 s20, s14
	v_add_f64 v[106:107], v[80:81], v[72:73]
	v_fma_f64 v[100:101], v[90:91], s[18:19], v[4:5]
	v_fma_f64 v[4:5], v[90:91], s[2:3], v[4:5]
	v_fma_f64 v[98:99], v[98:99], -0.5, v[80:81]
	v_add_f64 v[108:109], v[70:71], -v[62:63]
	v_fma_f64 v[70:71], v[90:91], s[20:21], v[88:89]
	v_add_f64 v[90:91], v[102:103], v[104:105]
	s_mov_b32 s22, 0x372fe950
	s_mov_b32 s23, 0x3fd3c6ef
	v_fma_f64 v[88:89], v[86:87], s[14:15], v[100:101]
	v_add_f64 v[100:101], v[72:73], v[64:65]
	v_fma_f64 v[4:5], v[86:87], s[20:21], v[4:5]
	v_add_f64 v[86:87], v[106:107], v[68:69]
	v_fma_f64 v[102:103], v[108:109], s[18:19], v[98:99]
	v_add_f64 v[104:105], v[66:67], -v[74:75]
	v_fma_f64 v[62:63], v[96:97], s[22:23], v[78:79]
	v_fma_f64 v[66:67], v[96:97], s[22:23], v[70:71]
	;; [unrolled: 1-line block ×3, first 2 shown]
	v_fma_f64 v[78:79], v[100:101], -0.5, v[80:81]
	s_waitcnt lgkmcnt(2)
	v_add_f64 v[88:89], v[42:43], v[54:55]
	v_fma_f64 v[96:97], v[108:109], s[2:3], v[98:99]
	v_fma_f64 v[74:75], v[90:91], s[22:23], v[4:5]
	v_add_f64 v[4:5], v[86:87], v[76:77]
	v_fma_f64 v[80:81], v[104:105], s[20:21], v[102:103]
	v_add_f64 v[86:87], v[72:73], -v[68:69]
	v_add_f64 v[90:91], v[64:65], -v[76:77]
	v_fma_f64 v[98:99], v[104:105], s[2:3], v[78:79]
	v_add_f64 v[68:69], v[68:69], -v[72:73]
	v_add_f64 v[72:73], v[76:77], -v[64:65]
	v_fma_f64 v[76:77], v[104:105], s[18:19], v[78:79]
	v_add_f64 v[78:79], v[58:59], v[50:51]
	v_fma_f64 v[88:89], v[88:89], -0.5, v[58:59]
	v_add_f64 v[100:101], v[52:53], -v[48:49]
	v_fma_f64 v[96:97], v[104:105], s[14:15], v[96:97]
	v_add_f64 v[104:105], v[50:51], v[46:47]
	v_add_f64 v[90:91], v[86:87], v[90:91]
	v_fma_f64 v[98:99], v[108:109], s[20:21], v[98:99]
	v_add_f64 v[102:103], v[68:69], v[72:73]
	v_fma_f64 v[76:77], v[108:109], s[14:15], v[76:77]
	;; [unrolled: 2-line block ×3, first 2 shown]
	v_add_f64 v[108:109], v[44:45], -v[56:57]
	v_add_f64 v[86:87], v[4:5], v[64:65]
	v_fma_f64 v[4:5], v[104:105], -0.5, v[58:59]
	v_fma_f64 v[64:65], v[90:91], s[22:23], v[80:81]
	v_fma_f64 v[68:69], v[90:91], s[22:23], v[96:97]
	;; [unrolled: 1-line block ×4, first 2 shown]
	v_add_f64 v[58:59], v[78:79], v[54:55]
	v_fma_f64 v[78:79], v[108:109], s[14:15], v[106:107]
	v_add_f64 v[80:81], v[50:51], -v[42:43]
	v_add_f64 v[90:91], v[60:61], v[52:53]
	v_add_f64 v[98:99], v[46:47], -v[54:55]
	v_fma_f64 v[88:89], v[100:101], s[18:19], v[88:89]
	v_fma_f64 v[102:103], v[108:109], s[18:19], v[4:5]
	v_add_f64 v[104:105], v[42:43], -v[50:51]
	v_add_f64 v[106:107], v[54:55], -v[46:47]
	v_fma_f64 v[4:5], v[108:109], s[2:3], v[4:5]
	v_add_f64 v[96:97], v[44:45], v[56:57]
	v_add_f64 v[90:91], v[90:91], v[44:45]
	v_add_f64 v[110:111], v[50:51], -v[46:47]
	v_add_f64 v[50:51], v[80:81], v[98:99]
	v_fma_f64 v[80:81], v[108:109], s[20:21], v[88:89]
	v_fma_f64 v[88:89], v[100:101], s[14:15], v[102:103]
	v_add_f64 v[98:99], v[104:105], v[106:107]
	v_fma_f64 v[4:5], v[100:101], s[20:21], v[4:5]
	v_add_f64 v[100:101], v[52:53], v[48:49]
	v_fma_f64 v[96:97], v[96:97], -0.5, v[60:61]
	v_add_f64 v[90:91], v[90:91], v[56:57]
	v_add_f64 v[104:105], v[42:43], -v[54:55]
	v_add_f64 v[58:59], v[58:59], v[46:47]
	v_fma_f64 v[42:43], v[50:51], s[22:23], v[78:79]
	v_fma_f64 v[46:47], v[50:51], s[22:23], v[80:81]
	;; [unrolled: 1-line block ×3, first 2 shown]
	v_fma_f64 v[4:5], v[100:101], -0.5, v[60:61]
	v_fma_f64 v[102:103], v[110:111], s[18:19], v[96:97]
	v_fma_f64 v[50:51], v[98:99], s[22:23], v[88:89]
	v_add_f64 v[60:61], v[90:91], v[48:49]
	v_add_f64 v[80:81], v[52:53], -v[44:45]
	v_add_f64 v[88:89], v[48:49], -v[56:57]
	v_add_f64 v[90:91], v[38:39], v[22:23]
	v_fma_f64 v[96:97], v[110:111], s[2:3], v[96:97]
	s_waitcnt lgkmcnt(1)
	v_add_f64 v[98:99], v[26:27], v[30:31]
	v_fma_f64 v[100:101], v[104:105], s[2:3], v[4:5]
	v_add_f64 v[44:45], v[44:45], -v[52:53]
	v_add_f64 v[48:49], v[56:57], -v[48:49]
	v_fma_f64 v[4:5], v[104:105], s[18:19], v[4:5]
	v_fma_f64 v[78:79], v[104:105], s[20:21], v[102:103]
	v_add_f64 v[52:53], v[80:81], v[88:89]
	v_add_f64 v[56:57], v[90:91], v[26:27]
	v_fma_f64 v[80:81], v[104:105], s[14:15], v[96:97]
	v_fma_f64 v[88:89], v[98:99], -0.5, v[38:39]
	s_waitcnt lgkmcnt(0)
	v_add_f64 v[90:91], v[24:25], -v[36:37]
	v_fma_f64 v[96:97], v[110:111], s[20:21], v[100:101]
	v_add_f64 v[98:99], v[44:45], v[48:49]
	v_fma_f64 v[4:5], v[110:111], s[14:15], v[4:5]
	v_add_f64 v[100:101], v[22:23], v[34:35]
	v_add_f64 v[102:103], v[56:57], v[30:31]
	v_fma_f64 v[44:45], v[52:53], s[22:23], v[78:79]
	v_fma_f64 v[48:49], v[52:53], s[22:23], v[80:81]
	;; [unrolled: 1-line block ×3, first 2 shown]
	v_add_f64 v[80:81], v[28:29], -v[32:33]
	v_fma_f64 v[52:53], v[98:99], s[22:23], v[96:97]
	v_fma_f64 v[56:57], v[98:99], s[22:23], v[4:5]
	v_fma_f64 v[4:5], v[100:101], -0.5, v[38:39]
	v_add_f64 v[96:97], v[22:23], -v[26:27]
	v_add_f64 v[98:99], v[34:35], -v[30:31]
	v_fma_f64 v[88:89], v[90:91], s[18:19], v[88:89]
	v_add_f64 v[100:101], v[40:41], v[24:25]
	v_add_f64 v[38:39], v[102:103], v[34:35]
	v_fma_f64 v[78:79], v[80:81], s[14:15], v[78:79]
	v_add_f64 v[102:103], v[28:29], v[32:33]
	v_fma_f64 v[104:105], v[80:81], s[18:19], v[4:5]
	v_add_f64 v[106:107], v[26:27], -v[22:23]
	v_add_f64 v[108:109], v[30:31], -v[34:35]
	v_add_f64 v[96:97], v[96:97], v[98:99]
	v_fma_f64 v[88:89], v[80:81], s[20:21], v[88:89]
	v_fma_f64 v[4:5], v[80:81], s[2:3], v[4:5]
	v_add_f64 v[80:81], v[100:101], v[28:29]
	v_fma_f64 v[98:99], v[102:103], -0.5, v[40:41]
	v_add_f64 v[100:101], v[22:23], -v[34:35]
	v_fma_f64 v[102:103], v[90:91], s[14:15], v[104:105]
	v_add_f64 v[104:105], v[106:107], v[108:109]
	v_fma_f64 v[22:23], v[96:97], s[22:23], v[78:79]
	v_fma_f64 v[34:35], v[96:97], s[22:23], v[88:89]
	;; [unrolled: 1-line block ×3, first 2 shown]
	v_add_f64 v[78:79], v[80:81], v[32:33]
	v_add_f64 v[80:81], v[24:25], v[36:37]
	v_add_f64 v[90:91], v[26:27], -v[30:31]
	v_fma_f64 v[88:89], v[100:101], s[18:19], v[98:99]
	v_fma_f64 v[26:27], v[104:105], s[22:23], v[102:103]
	v_add_f64 v[96:97], v[10:11], v[14:15]
	v_add_f64 v[102:103], v[24:25], -v[28:29]
	v_fma_f64 v[30:31], v[104:105], s[22:23], v[4:5]
	v_add_f64 v[106:107], v[36:37], -v[32:33]
	v_fma_f64 v[4:5], v[80:81], -0.5, v[40:41]
	v_add_f64 v[80:81], v[0:1], v[6:7]
	v_fma_f64 v[98:99], v[100:101], s[2:3], v[98:99]
	v_add_f64 v[24:25], v[28:29], -v[24:25]
	v_add_f64 v[28:29], v[32:33], -v[36:37]
	v_add_f64 v[40:41], v[78:79], v[36:37]
	v_fma_f64 v[78:79], v[90:91], s[20:21], v[88:89]
	v_fma_f64 v[88:89], v[96:97], -0.5, v[0:1]
	v_fma_f64 v[104:105], v[90:91], s[2:3], v[4:5]
	v_fma_f64 v[4:5], v[90:91], s[18:19], v[4:5]
	v_add_f64 v[32:33], v[80:81], v[10:11]
	v_add_f64 v[96:97], v[8:9], -v[20:21]
	v_add_f64 v[102:103], v[102:103], v[106:107]
	v_fma_f64 v[90:91], v[90:91], s[14:15], v[98:99]
	v_add_f64 v[98:99], v[6:7], v[18:19]
	v_add_f64 v[80:81], v[12:13], -v[16:17]
	v_fma_f64 v[104:105], v[100:101], s[20:21], v[104:105]
	v_fma_f64 v[4:5], v[100:101], s[14:15], v[4:5]
	v_add_f64 v[100:101], v[32:33], v[14:15]
	v_fma_f64 v[36:37], v[96:97], s[2:3], v[88:89]
	v_add_f64 v[110:111], v[24:25], v[28:29]
	v_fma_f64 v[24:25], v[102:103], s[22:23], v[78:79]
	v_fma_f64 v[0:1], v[98:99], -0.5, v[0:1]
	v_add_f64 v[78:79], v[12:13], v[16:17]
	v_add_f64 v[106:107], v[6:7], -v[10:11]
	v_fma_f64 v[88:89], v[96:97], s[18:19], v[88:89]
	v_add_f64 v[124:125], v[100:101], v[18:19]
	v_add_f64 v[100:101], v[8:9], v[20:21]
	v_fma_f64 v[112:113], v[80:81], s[14:15], v[36:37]
	v_fma_f64 v[36:37], v[102:103], s[22:23], v[90:91]
	;; [unrolled: 1-line block ×4, first 2 shown]
	v_add_f64 v[98:99], v[10:11], -v[6:7]
	v_add_f64 v[102:103], v[14:15], -v[18:19]
	v_add_f64 v[104:105], v[2:3], v[8:9]
	v_fma_f64 v[78:79], v[78:79], -0.5, v[2:3]
	v_add_f64 v[6:7], v[6:7], -v[18:19]
	v_add_f64 v[10:11], v[10:11], -v[14:15]
	v_fma_f64 v[2:3], v[100:101], -0.5, v[2:3]
	v_add_f64 v[108:109], v[18:19], -v[14:15]
	v_fma_f64 v[18:19], v[80:81], s[20:21], v[88:89]
	v_fma_f64 v[88:89], v[96:97], s[14:15], v[90:91]
	v_add_f64 v[14:15], v[98:99], v[102:103]
	v_fma_f64 v[0:1], v[80:81], s[2:3], v[0:1]
	v_add_f64 v[80:81], v[104:105], v[12:13]
	v_fma_f64 v[90:91], v[6:7], s[18:19], v[78:79]
	v_add_f64 v[98:99], v[8:9], -v[12:13]
	v_add_f64 v[100:101], v[20:21], -v[16:17]
	v_fma_f64 v[78:79], v[6:7], s[2:3], v[78:79]
	v_fma_f64 v[102:103], v[10:11], s[2:3], v[2:3]
	v_add_f64 v[8:9], v[12:13], -v[8:9]
	v_add_f64 v[12:13], v[16:17], -v[20:21]
	v_fma_f64 v[2:3], v[10:11], s[18:19], v[2:3]
	v_add_f64 v[106:107], v[106:107], v[108:109]
	v_fma_f64 v[0:1], v[96:97], s[20:21], v[0:1]
	v_add_f64 v[80:81], v[80:81], v[16:17]
	;; [unrolled: 2-line block ×3, first 2 shown]
	v_fma_f64 v[10:11], v[10:11], s[14:15], v[78:79]
	v_fma_f64 v[78:79], v[6:7], s[20:21], v[102:103]
	v_add_f64 v[98:99], v[8:9], v[12:13]
	v_fma_f64 v[2:3], v[6:7], s[14:15], v[2:3]
	v_fma_f64 v[32:33], v[110:111], s[22:23], v[4:5]
	;; [unrolled: 1-line block ×6, first 2 shown]
	v_add_f64 v[126:127], v[80:81], v[20:21]
	v_fma_f64 v[6:7], v[96:97], s[22:23], v[90:91]
	v_fma_f64 v[18:19], v[96:97], s[22:23], v[10:11]
	;; [unrolled: 1-line block ×4, first 2 shown]
	v_mul_lo_u16_e32 v0, 5, v93
	v_lshl_add_u32 v0, v0, 4, v196
	s_load_dwordx2 s[4:5], s[4:5], 0x8
	s_waitcnt lgkmcnt(0)
	s_barrier
	ds_write_b128 v0, v[84:87]
	ds_write_b128 v0, v[62:65] offset:16
	ds_write_b128 v0, v[70:73] offset:32
	;; [unrolled: 1-line block ×3, first 2 shown]
	buffer_store_dword v0, off, s[28:31], 0 offset:252 ; 4-byte Folded Spill
	ds_write_b128 v0, v[66:69] offset:64
	v_mul_u32_u24_e32 v0, 5, v185
	v_lshl_add_u32 v0, v0, 4, v196
	s_movk_i32 s16, 0xe1
	ds_write_b128 v0, v[58:61]
	ds_write_b128 v0, v[42:45] offset:16
	ds_write_b128 v0, v[50:53] offset:32
	;; [unrolled: 1-line block ×3, first 2 shown]
	buffer_store_dword v0, off, s[28:31], 0 offset:256 ; 4-byte Folded Spill
	ds_write_b128 v0, v[46:49] offset:64
	v_mul_u32_u24_e32 v0, 5, v184
	v_add_co_u32_e32 v95, vcc, s16, v93
	v_lshl_add_u32 v0, v0, 4, v196
	ds_write_b128 v0, v[38:41]
	ds_write_b128 v0, v[22:25] offset:16
	ds_write_b128 v0, v[26:29] offset:32
	ds_write_b128 v0, v[30:33] offset:48
	buffer_store_dword v0, off, s[28:31], 0 offset:260 ; 4-byte Folded Spill
	ds_write_b128 v0, v[34:37] offset:64
	v_mul_u32_u24_e32 v0, 5, v95
	buffer_store_dword v0, off, s[28:31], 0 offset:360 ; 4-byte Folded Spill
	s_and_saveexec_b64 s[2:3], s[0:1]
	s_cbranch_execz .LBB0_7
; %bb.6:
	v_mul_u32_u24_e32 v0, 5, v95
	v_lshl_add_u32 v0, v0, 4, v196
	ds_write_b128 v0, v[124:127]
	ds_write_b128 v0, v[4:7] offset:16
	ds_write_b128 v0, v[8:11] offset:32
	;; [unrolled: 1-line block ×4, first 2 shown]
.LBB0_7:
	s_or_b64 exec, exec, s[2:3]
	s_waitcnt vmcnt(0) lgkmcnt(0)
	s_barrier
	ds_read_b128 v[0:3], v92
	ds_read_b128 v[132:135], v92 offset:1200
	ds_read_b128 v[56:59], v92 offset:7680
	;; [unrolled: 1-line block ×14, first 2 shown]
	s_and_saveexec_b64 s[2:3], s[0:1]
	s_cbranch_execz .LBB0_9
; %bb.8:
	ds_read_b128 v[124:127], v92 offset:3600
	ds_read_b128 v[4:7], v92 offset:7440
	;; [unrolled: 1-line block ×5, first 2 shown]
.LBB0_9:
	s_or_b64 exec, exec, s[2:3]
	s_movk_i32 s2, 0xcd
	v_mul_lo_u16_sdwa v68, v93, s2 dst_sel:DWORD dst_unused:UNUSED_PAD src0_sel:BYTE_0 src1_sel:DWORD
	v_lshrrev_b16_e32 v94, 10, v68
	v_mul_lo_u16_e32 v68, 5, v94
	v_sub_u16_e32 v172, v93, v68
	v_mov_b32_e32 v72, 6
	v_lshlrev_b32_sdwa v68, v72, v172 dst_sel:DWORD dst_unused:UNUSED_PAD src0_sel:DWORD src1_sel:BYTE_0
	global_load_dwordx4 v[73:76], v68, s[4:5] offset:48
	global_load_dwordx4 v[77:80], v68, s[4:5] offset:32
	;; [unrolled: 1-line block ×3, first 2 shown]
	global_load_dwordx4 v[88:91], v68, s[4:5]
	s_mov_b32 s18, 0x134454ff
	s_mov_b32 s19, 0x3fee6f0e
	;; [unrolled: 1-line block ×6, first 2 shown]
	s_waitcnt vmcnt(0) lgkmcnt(8)
	v_mul_f64 v[68:69], v[66:67], v[90:91]
	v_fma_f64 v[168:169], v[64:65], v[88:89], -v[68:69]
	v_mul_f64 v[64:65], v[64:65], v[90:91]
	buffer_store_dword v88, off, s[28:31], 0 offset:312 ; 4-byte Folded Spill
	s_nop 0
	buffer_store_dword v89, off, s[28:31], 0 offset:316 ; 4-byte Folded Spill
	buffer_store_dword v90, off, s[28:31], 0 offset:320 ; 4-byte Folded Spill
	;; [unrolled: 1-line block ×3, first 2 shown]
	v_fma_f64 v[160:161], v[66:67], v[88:89], v[64:65]
	v_mul_f64 v[64:65], v[58:59], v[86:87]
	v_fma_f64 v[142:143], v[56:57], v[84:85], -v[64:65]
	v_mul_f64 v[56:57], v[56:57], v[86:87]
	buffer_store_dword v84, off, s[28:31], 0 offset:296 ; 4-byte Folded Spill
	s_nop 0
	buffer_store_dword v85, off, s[28:31], 0 offset:300 ; 4-byte Folded Spill
	buffer_store_dword v86, off, s[28:31], 0 offset:304 ; 4-byte Folded Spill
	;; [unrolled: 1-line block ×3, first 2 shown]
	v_fma_f64 v[162:163], v[58:59], v[84:85], v[56:57]
	s_waitcnt lgkmcnt(4)
	v_mul_f64 v[56:57], v[62:63], v[79:80]
	v_fma_f64 v[146:147], v[60:61], v[77:78], -v[56:57]
	v_mul_f64 v[56:57], v[60:61], v[79:80]
	buffer_store_dword v77, off, s[28:31], 0 offset:280 ; 4-byte Folded Spill
	s_nop 0
	buffer_store_dword v78, off, s[28:31], 0 offset:284 ; 4-byte Folded Spill
	buffer_store_dword v79, off, s[28:31], 0 offset:288 ; 4-byte Folded Spill
	;; [unrolled: 1-line block ×3, first 2 shown]
	v_fma_f64 v[164:165], v[62:63], v[77:78], v[56:57]
	v_mul_f64 v[56:57], v[54:55], v[75:76]
	v_fma_f64 v[170:171], v[52:53], v[73:74], -v[56:57]
	v_mul_f64 v[52:53], v[52:53], v[75:76]
	buffer_store_dword v73, off, s[28:31], 0 offset:264 ; 4-byte Folded Spill
	s_nop 0
	buffer_store_dword v74, off, s[28:31], 0 offset:268 ; 4-byte Folded Spill
	buffer_store_dword v75, off, s[28:31], 0 offset:272 ; 4-byte Folded Spill
	;; [unrolled: 1-line block ×3, first 2 shown]
	v_fma_f64 v[166:167], v[54:55], v[73:74], v[52:53]
	v_mul_lo_u16_sdwa v52, v185, s2 dst_sel:DWORD dst_unused:UNUSED_PAD src0_sel:BYTE_0 src1_sel:DWORD
	v_lshrrev_b16_e32 v173, 10, v52
	v_mul_lo_u16_e32 v52, 5, v173
	v_sub_u16_e32 v174, v185, v52
	v_lshlrev_b32_sdwa v52, v72, v174 dst_sel:DWORD dst_unused:UNUSED_PAD src0_sel:DWORD src1_sel:BYTE_0
	global_load_dwordx4 v[76:79], v52, s[4:5] offset:48
	global_load_dwordx4 v[68:71], v52, s[4:5] offset:32
	;; [unrolled: 1-line block ×3, first 2 shown]
	global_load_dwordx4 v[88:91], v52, s[4:5]
	s_waitcnt vmcnt(0)
	v_mul_f64 v[52:53], v[50:51], v[90:91]
	v_fma_f64 v[152:153], v[48:49], v[88:89], -v[52:53]
	v_mul_f64 v[48:49], v[48:49], v[90:91]
	v_fma_f64 v[66:67], v[50:51], v[88:89], v[48:49]
	v_mul_f64 v[48:49], v[42:43], v[86:87]
	v_fma_f64 v[154:155], v[40:41], v[84:85], -v[48:49]
	v_mul_f64 v[40:41], v[40:41], v[86:87]
	v_fma_f64 v[80:81], v[42:43], v[84:85], v[40:41]
	s_waitcnt lgkmcnt(2)
	v_mul_f64 v[40:41], v[46:47], v[70:71]
	v_fma_f64 v[156:157], v[44:45], v[68:69], -v[40:41]
	v_mul_f64 v[40:41], v[44:45], v[70:71]
	v_fma_f64 v[148:149], v[46:47], v[68:69], v[40:41]
	v_mul_f64 v[40:41], v[38:39], v[78:79]
	v_fma_f64 v[158:159], v[36:37], v[76:77], -v[40:41]
	v_mul_f64 v[36:37], v[36:37], v[78:79]
	v_fma_f64 v[150:151], v[38:39], v[76:77], v[36:37]
	v_mul_lo_u16_sdwa v36, v184, s2 dst_sel:DWORD dst_unused:UNUSED_PAD src0_sel:BYTE_0 src1_sel:DWORD
	v_lshrrev_b16_e32 v175, 10, v36
	v_mul_lo_u16_e32 v36, 5, v175
	v_sub_u16_e32 v176, v184, v36
	v_lshlrev_b32_sdwa v36, v72, v176 dst_sel:DWORD dst_unused:UNUSED_PAD src0_sel:DWORD src1_sel:BYTE_0
	global_load_dwordx4 v[38:41], v36, s[4:5] offset:48
	global_load_dwordx4 v[96:99], v36, s[4:5] offset:32
	;; [unrolled: 1-line block ×3, first 2 shown]
	global_load_dwordx4 v[104:107], v36, s[4:5]
	s_mov_b32 s2, 0xcccd
	s_waitcnt vmcnt(0)
	v_mul_f64 v[36:37], v[34:35], v[106:107]
	v_fma_f64 v[60:61], v[32:33], v[104:105], -v[36:37]
	v_mul_f64 v[32:33], v[32:33], v[106:107]
	v_fma_f64 v[52:53], v[34:35], v[104:105], v[32:33]
	v_mul_f64 v[32:33], v[30:31], v[102:103]
	v_fma_f64 v[34:35], v[28:29], v[100:101], -v[32:33]
	v_mul_f64 v[28:29], v[28:29], v[102:103]
	v_add_f64 v[32:33], v[80:81], -v[66:67]
	v_add_f64 v[74:75], v[60:61], -v[34:35]
	v_fma_f64 v[54:55], v[30:31], v[100:101], v[28:29]
	s_waitcnt lgkmcnt(1)
	v_mul_f64 v[28:29], v[26:27], v[98:99]
	v_add_f64 v[30:31], v[150:151], -v[148:149]
	v_fma_f64 v[62:63], v[24:25], v[96:97], -v[28:29]
	v_mul_f64 v[24:25], v[24:25], v[98:99]
	v_add_f64 v[28:29], v[154:155], -v[156:157]
	v_fma_f64 v[56:57], v[26:27], v[96:97], v[24:25]
	s_waitcnt lgkmcnt(0)
	v_mul_f64 v[24:25], v[22:23], v[40:41]
	v_add_f64 v[26:27], v[66:67], -v[80:81]
	v_add_f64 v[72:73], v[54:55], -v[56:57]
	v_fma_f64 v[64:65], v[20:21], v[38:39], -v[24:25]
	v_mul_f64 v[20:21], v[20:21], v[40:41]
	buffer_store_dword v38, off, s[28:31], 0 offset:328 ; 4-byte Folded Spill
	s_nop 0
	buffer_store_dword v39, off, s[28:31], 0 offset:332 ; 4-byte Folded Spill
	buffer_store_dword v40, off, s[28:31], 0 offset:336 ; 4-byte Folded Spill
	;; [unrolled: 1-line block ×3, first 2 shown]
	v_add_f64 v[24:25], v[156:157], -v[158:159]
	v_add_f64 v[26:27], v[26:27], v[30:31]
	v_fma_f64 v[58:59], v[22:23], v[38:39], v[20:21]
	v_mul_u32_u24_sdwa v20, v95, s2 dst_sel:DWORD dst_unused:UNUSED_PAD src0_sel:WORD_0 src1_sel:DWORD
	v_lshrrev_b32_e32 v177, 18, v20
	v_mul_lo_u16_e32 v20, 5, v177
	v_sub_u16_e32 v178, v95, v20
	v_lshlrev_b16_e32 v20, 2, v178
	v_lshlrev_b32_e32 v20, 4, v20
	global_load_dwordx4 v[108:111], v20, s[4:5] offset:48
	global_load_dwordx4 v[112:115], v20, s[4:5] offset:32
	;; [unrolled: 1-line block ×3, first 2 shown]
	global_load_dwordx4 v[120:123], v20, s[4:5]
	s_mov_b32 s2, 0x372fe950
	s_mov_b32 s3, 0x3fd3c6ef
	v_add_f64 v[22:23], v[154:155], -v[152:153]
	s_waitcnt vmcnt(0)
	s_barrier
	v_add_f64 v[22:23], v[22:23], v[24:25]
	v_mul_f64 v[20:21], v[6:7], v[122:123]
	v_fma_f64 v[36:37], v[4:5], v[120:121], -v[20:21]
	v_mul_f64 v[4:5], v[4:5], v[122:123]
	v_add_f64 v[20:21], v[158:159], -v[156:157]
	v_fma_f64 v[48:49], v[6:7], v[120:121], v[4:5]
	v_mul_f64 v[4:5], v[10:11], v[118:119]
	v_add_f64 v[6:7], v[160:161], -v[166:167]
	v_fma_f64 v[38:39], v[8:9], v[116:117], -v[4:5]
	v_mul_f64 v[4:5], v[8:9], v[118:119]
	v_fma_f64 v[42:43], v[10:11], v[116:117], v[4:5]
	v_mul_f64 v[4:5], v[14:15], v[114:115]
	v_add_f64 v[10:11], v[162:163], -v[164:165]
	v_fma_f64 v[40:41], v[12:13], v[112:113], -v[4:5]
	v_mul_f64 v[4:5], v[12:13], v[114:115]
	v_add_f64 v[12:13], v[168:169], -v[142:143]
	v_fma_f64 v[46:47], v[14:15], v[112:113], v[4:5]
	v_mul_f64 v[4:5], v[18:19], v[110:111]
	v_add_f64 v[14:15], v[170:171], -v[146:147]
	v_fma_f64 v[44:45], v[16:17], v[108:109], -v[4:5]
	v_mul_f64 v[4:5], v[16:17], v[110:111]
	v_add_f64 v[12:13], v[12:13], v[14:15]
	v_add_f64 v[14:15], v[160:161], -v[162:163]
	v_add_f64 v[16:17], v[166:167], -v[164:165]
	v_fma_f64 v[50:51], v[18:19], v[108:109], v[4:5]
	v_add_f64 v[4:5], v[0:1], v[168:169]
	v_add_f64 v[18:19], v[80:81], -v[148:149]
	v_add_f64 v[14:15], v[14:15], v[16:17]
	v_add_f64 v[16:17], v[152:153], -v[154:155]
	v_add_f64 v[4:5], v[4:5], v[142:143]
	v_add_f64 v[20:21], v[16:17], v[20:21]
	;; [unrolled: 1-line block ×5, first 2 shown]
	v_fma_f64 v[4:5], v[4:5], -0.5, v[0:1]
	v_fma_f64 v[8:9], v[6:7], s[18:19], v[4:5]
	v_fma_f64 v[4:5], v[6:7], s[20:21], v[4:5]
	;; [unrolled: 1-line block ×6, first 2 shown]
	v_add_f64 v[4:5], v[168:169], v[170:171]
	v_add_f64 v[8:9], v[142:143], -v[168:169]
	v_add_f64 v[12:13], v[146:147], -v[170:171]
	v_fma_f64 v[0:1], v[4:5], -0.5, v[0:1]
	v_add_f64 v[8:9], v[8:9], v[12:13]
	v_add_f64 v[12:13], v[142:143], -v[146:147]
	v_fma_f64 v[4:5], v[10:11], s[20:21], v[0:1]
	v_fma_f64 v[0:1], v[10:11], s[18:19], v[0:1]
	;; [unrolled: 1-line block ×4, first 2 shown]
	v_add_f64 v[6:7], v[2:3], v[160:161]
	v_fma_f64 v[4:5], v[8:9], s[2:3], v[4:5]
	v_fma_f64 v[0:1], v[8:9], s[2:3], v[0:1]
	v_add_f64 v[6:7], v[6:7], v[162:163]
	v_add_f64 v[8:9], v[168:169], -v[170:171]
	v_add_f64 v[6:7], v[6:7], v[164:165]
	v_add_f64 v[138:139], v[6:7], v[166:167]
	v_add_f64 v[6:7], v[162:163], v[164:165]
	v_fma_f64 v[6:7], v[6:7], -0.5, v[2:3]
	v_fma_f64 v[10:11], v[8:9], s[20:21], v[6:7]
	v_fma_f64 v[6:7], v[8:9], s[18:19], v[6:7]
	;; [unrolled: 1-line block ×6, first 2 shown]
	v_add_f64 v[6:7], v[160:161], v[166:167]
	v_add_f64 v[10:11], v[162:163], -v[160:161]
	v_add_f64 v[14:15], v[164:165], -v[166:167]
	v_fma_f64 v[2:3], v[6:7], -0.5, v[2:3]
	v_add_f64 v[10:11], v[10:11], v[14:15]
	v_add_f64 v[14:15], v[66:67], -v[150:151]
	v_fma_f64 v[6:7], v[12:13], s[18:19], v[2:3]
	v_fma_f64 v[2:3], v[12:13], s[20:21], v[2:3]
	;; [unrolled: 1-line block ×4, first 2 shown]
	v_add_f64 v[8:9], v[132:133], v[152:153]
	v_fma_f64 v[6:7], v[10:11], s[2:3], v[6:7]
	v_fma_f64 v[2:3], v[10:11], s[2:3], v[2:3]
	v_add_f64 v[10:11], v[154:155], v[156:157]
	v_add_f64 v[8:9], v[8:9], v[154:155]
	v_fma_f64 v[10:11], v[10:11], -0.5, v[132:133]
	v_add_f64 v[8:9], v[8:9], v[156:157]
	v_fma_f64 v[12:13], v[14:15], s[18:19], v[10:11]
	v_fma_f64 v[10:11], v[14:15], s[20:21], v[10:11]
	v_add_f64 v[8:9], v[8:9], v[158:159]
	v_fma_f64 v[12:13], v[18:19], s[14:15], v[12:13]
	v_fma_f64 v[10:11], v[18:19], s[22:23], v[10:11]
	;; [unrolled: 1-line block ×4, first 2 shown]
	v_add_f64 v[10:11], v[152:153], v[158:159]
	v_fma_f64 v[10:11], v[10:11], -0.5, v[132:133]
	v_fma_f64 v[20:21], v[18:19], s[20:21], v[10:11]
	v_fma_f64 v[10:11], v[18:19], s[18:19], v[10:11]
	;; [unrolled: 1-line block ×4, first 2 shown]
	v_add_f64 v[14:15], v[80:81], v[148:149]
	v_fma_f64 v[24:25], v[22:23], s[2:3], v[20:21]
	v_fma_f64 v[20:21], v[22:23], s[2:3], v[10:11]
	v_fma_f64 v[14:15], v[14:15], -0.5, v[134:135]
	v_add_f64 v[22:23], v[152:153], -v[158:159]
	v_add_f64 v[10:11], v[134:135], v[66:67]
	v_fma_f64 v[18:19], v[22:23], s[20:21], v[14:15]
	v_fma_f64 v[14:15], v[22:23], s[18:19], v[14:15]
	v_add_f64 v[10:11], v[10:11], v[80:81]
	v_add_f64 v[80:81], v[64:65], -v[62:63]
	v_fma_f64 v[18:19], v[28:29], s[22:23], v[18:19]
	v_fma_f64 v[14:15], v[28:29], s[14:15], v[14:15]
	v_add_f64 v[10:11], v[10:11], v[148:149]
	v_add_f64 v[74:75], v[74:75], v[80:81]
	v_add_f64 v[80:81], v[34:35], -v[60:61]
	v_fma_f64 v[18:19], v[26:27], s[2:3], v[18:19]
	v_fma_f64 v[14:15], v[26:27], s[2:3], v[14:15]
	v_add_f64 v[26:27], v[66:67], v[150:151]
	v_add_f64 v[66:67], v[148:149], -v[150:151]
	v_add_f64 v[10:11], v[10:11], v[150:151]
	v_fma_f64 v[30:31], v[26:27], -0.5, v[134:135]
	v_add_f64 v[32:33], v[32:33], v[66:67]
	v_add_f64 v[66:67], v[52:53], -v[58:59]
	v_fma_f64 v[26:27], v[28:29], s[18:19], v[30:31]
	v_fma_f64 v[28:29], v[28:29], s[20:21], v[30:31]
	v_add_f64 v[30:31], v[34:35], v[62:63]
	v_fma_f64 v[26:27], v[22:23], s[22:23], v[26:27]
	v_fma_f64 v[22:23], v[22:23], s[14:15], v[28:29]
	v_fma_f64 v[30:31], v[30:31], -0.5, v[128:129]
	v_add_f64 v[28:29], v[128:129], v[60:61]
	v_fma_f64 v[26:27], v[32:33], s[2:3], v[26:27]
	v_fma_f64 v[22:23], v[32:33], s[2:3], v[22:23]
	v_fma_f64 v[32:33], v[66:67], s[18:19], v[30:31]
	v_fma_f64 v[30:31], v[66:67], s[20:21], v[30:31]
	v_add_f64 v[28:29], v[28:29], v[34:35]
	v_fma_f64 v[32:33], v[72:73], s[14:15], v[32:33]
	v_fma_f64 v[30:31], v[72:73], s[22:23], v[30:31]
	v_add_f64 v[28:29], v[28:29], v[62:63]
	v_fma_f64 v[132:133], v[74:75], s[2:3], v[32:33]
	v_fma_f64 v[32:33], v[74:75], s[2:3], v[30:31]
	v_add_f64 v[30:31], v[60:61], v[64:65]
	v_add_f64 v[60:61], v[60:61], -v[64:65]
	v_add_f64 v[28:29], v[28:29], v[64:65]
	v_fma_f64 v[30:31], v[30:31], -0.5, v[128:129]
	v_add_f64 v[128:129], v[62:63], -v[64:65]
	v_add_f64 v[62:63], v[34:35], -v[62:63]
	v_fma_f64 v[74:75], v[72:73], s[20:21], v[30:31]
	v_fma_f64 v[30:31], v[72:73], s[18:19], v[30:31]
	v_add_f64 v[72:73], v[58:59], -v[56:57]
	v_add_f64 v[80:81], v[80:81], v[128:129]
	v_fma_f64 v[74:75], v[66:67], s[14:15], v[74:75]
	v_fma_f64 v[30:31], v[66:67], s[22:23], v[30:31]
	v_add_f64 v[66:67], v[54:55], v[56:57]
	v_fma_f64 v[128:129], v[80:81], s[2:3], v[74:75]
	v_fma_f64 v[148:149], v[80:81], s[2:3], v[30:31]
	v_fma_f64 v[66:67], v[66:67], -0.5, v[130:131]
	v_add_f64 v[30:31], v[130:131], v[52:53]
	v_fma_f64 v[64:65], v[60:61], s[20:21], v[66:67]
	v_add_f64 v[30:31], v[30:31], v[54:55]
	v_fma_f64 v[34:35], v[62:63], s[22:23], v[64:65]
	v_add_f64 v[64:65], v[52:53], -v[54:55]
	v_add_f64 v[30:31], v[30:31], v[56:57]
	v_add_f64 v[64:65], v[64:65], v[72:73]
	;; [unrolled: 1-line block ×3, first 2 shown]
	v_fma_f64 v[134:135], v[64:65], s[2:3], v[34:35]
	v_fma_f64 v[34:35], v[60:61], s[18:19], v[66:67]
	;; [unrolled: 1-line block ×4, first 2 shown]
	v_add_f64 v[64:65], v[52:53], v[58:59]
	v_add_f64 v[52:53], v[54:55], -v[52:53]
	v_add_f64 v[54:55], v[56:57], -v[58:59]
	v_add_f64 v[58:59], v[42:43], -v[46:47]
	v_fma_f64 v[64:65], v[64:65], -0.5, v[130:131]
	v_add_f64 v[52:53], v[52:53], v[54:55]
	v_fma_f64 v[66:67], v[62:63], s[18:19], v[64:65]
	v_fma_f64 v[54:55], v[62:63], s[20:21], v[64:65]
	v_add_f64 v[62:63], v[44:45], -v[40:41]
	v_fma_f64 v[66:67], v[60:61], s[22:23], v[66:67]
	v_fma_f64 v[54:55], v[60:61], s[14:15], v[54:55]
	v_add_f64 v[60:61], v[36:37], -v[38:39]
	v_fma_f64 v[130:131], v[52:53], s[2:3], v[66:67]
	v_fma_f64 v[150:151], v[52:53], s[2:3], v[54:55]
	v_add_f64 v[52:53], v[38:39], v[40:41]
	v_add_f64 v[54:55], v[48:49], -v[50:51]
	v_add_f64 v[60:61], v[60:61], v[62:63]
	v_add_f64 v[62:63], v[40:41], -v[44:45]
	v_fma_f64 v[52:53], v[52:53], -0.5, v[124:125]
	v_fma_f64 v[56:57], v[54:55], s[18:19], v[52:53]
	v_fma_f64 v[52:53], v[54:55], s[20:21], v[52:53]
	;; [unrolled: 1-line block ×6, first 2 shown]
	v_add_f64 v[52:53], v[36:37], v[44:45]
	v_add_f64 v[60:61], v[38:39], -v[36:37]
	v_fma_f64 v[52:53], v[52:53], -0.5, v[124:125]
	v_add_f64 v[60:61], v[60:61], v[62:63]
	v_add_f64 v[62:63], v[50:51], -v[46:47]
	v_fma_f64 v[56:57], v[58:59], s[20:21], v[52:53]
	v_fma_f64 v[52:53], v[58:59], s[18:19], v[52:53]
	v_add_f64 v[58:59], v[38:39], -v[40:41]
	v_fma_f64 v[56:57], v[54:55], s[14:15], v[56:57]
	v_fma_f64 v[52:53], v[54:55], s[22:23], v[52:53]
	;; [unrolled: 3-line block ×3, first 2 shown]
	v_add_f64 v[52:53], v[42:43], v[46:47]
	v_add_f64 v[60:61], v[48:49], -v[42:43]
	v_fma_f64 v[52:53], v[52:53], -0.5, v[126:127]
	v_add_f64 v[60:61], v[60:61], v[62:63]
	v_add_f64 v[62:63], v[46:47], -v[50:51]
	v_fma_f64 v[56:57], v[54:55], s[20:21], v[52:53]
	v_fma_f64 v[52:53], v[54:55], s[18:19], v[52:53]
	;; [unrolled: 1-line block ×6, first 2 shown]
	v_add_f64 v[52:53], v[48:49], v[50:51]
	v_add_f64 v[60:61], v[42:43], -v[48:49]
	v_fma_f64 v[52:53], v[52:53], -0.5, v[126:127]
	v_add_f64 v[60:61], v[60:61], v[62:63]
	v_fma_f64 v[56:57], v[58:59], s[18:19], v[52:53]
	v_fma_f64 v[52:53], v[58:59], s[20:21], v[52:53]
	;; [unrolled: 1-line block ×6, first 2 shown]
	v_mul_u32_u24_e32 v52, 25, v94
	v_add_u32_sdwa v52, v52, v172 dst_sel:DWORD dst_unused:UNUSED_PAD src0_sel:DWORD src1_sel:BYTE_0
	v_lshl_add_u32 v52, v52, 4, v196
	ds_write_b128 v52, v[136:139]
	ds_write_b128 v52, v[140:143] offset:80
	ds_write_b128 v52, v[4:7] offset:160
	;; [unrolled: 1-line block ×3, first 2 shown]
	v_mul_u32_u24_e32 v0, 25, v173
	v_add_u32_sdwa v0, v0, v174 dst_sel:DWORD dst_unused:UNUSED_PAD src0_sel:DWORD src1_sel:BYTE_0
	v_lshl_add_u32 v0, v0, 4, v196
	buffer_store_dword v52, off, s[28:31], 0 offset:348 ; 4-byte Folded Spill
	ds_write_b128 v52, v[144:147] offset:320
	ds_write_b128 v0, v[8:11]
	ds_write_b128 v0, v[16:19] offset:80
	ds_write_b128 v0, v[24:27] offset:160
	;; [unrolled: 1-line block ×3, first 2 shown]
	buffer_store_dword v0, off, s[28:31], 0 offset:352 ; 4-byte Folded Spill
	ds_write_b128 v0, v[12:15] offset:320
	v_mul_u32_u24_e32 v0, 25, v175
	v_add_u32_sdwa v0, v0, v176 dst_sel:DWORD dst_unused:UNUSED_PAD src0_sel:DWORD src1_sel:BYTE_0
	v_lshl_add_u32 v0, v0, 4, v196
	ds_write_b128 v0, v[28:31]
	ds_write_b128 v0, v[132:135] offset:80
	ds_write_b128 v0, v[128:131] offset:160
	;; [unrolled: 1-line block ×3, first 2 shown]
	buffer_store_dword v0, off, s[28:31], 0 offset:356 ; 4-byte Folded Spill
	ds_write_b128 v0, v[32:35] offset:320
	v_mad_legacy_u16 v0, v177, 25, v178
	buffer_store_dword v0, off, s[28:31], 0 offset:344 ; 4-byte Folded Spill
	s_and_saveexec_b64 s[2:3], s[0:1]
	s_cbranch_execz .LBB0_11
; %bb.10:
	v_add_f64 v[0:1], v[126:127], v[48:49]
	v_add_f64 v[2:3], v[124:125], v[36:37]
	v_add_f64 v[0:1], v[0:1], v[42:43]
	v_add_f64 v[2:3], v[2:3], v[38:39]
	v_add_f64 v[0:1], v[0:1], v[46:47]
	v_add_f64 v[4:5], v[2:3], v[40:41]
	v_add_f64 v[2:3], v[0:1], v[50:51]
	v_add_f64 v[0:1], v[4:5], v[44:45]
	buffer_load_dword v4, off, s[28:31], 0 offset:344 ; 4-byte Folded Reload
	s_waitcnt vmcnt(0)
	v_lshl_add_u32 v4, v4, 4, v196
	ds_write_b128 v4, v[240:243] offset:80
	ds_write_b128 v4, v[244:247] offset:160
	ds_write_b128 v4, v[236:239] offset:240
	ds_write_b128 v4, v[0:3]
	ds_write_b128 v4, v[232:235] offset:320
.LBB0_11:
	s_or_b64 exec, exec, s[2:3]
	v_mov_b32_e32 v16, 41
	v_mul_lo_u16_sdwa v16, v93, v16 dst_sel:DWORD dst_unused:UNUSED_PAD src0_sel:BYTE_0 src1_sel:DWORD
	v_lshrrev_b16_e32 v16, 10, v16
	v_mul_lo_u16_e32 v17, 25, v16
	v_sub_u16_e32 v17, v93, v17
	v_mov_b32_e32 v67, s5
	v_and_b32_e32 v17, 0xff, v17
	s_movk_i32 s2, 0xf0
	v_mov_b32_e32 v66, s4
	v_mad_u64_u32 v[66:67], s[2:3], v17, s2, v[66:67]
	s_waitcnt vmcnt(0) lgkmcnt(0)
	s_barrier
	ds_read_b128 v[0:3], v92
	ds_read_b128 v[18:21], v92 offset:1200
	ds_read_b128 v[22:25], v92 offset:2400
	;; [unrolled: 1-line block ×15, first 2 shown]
	global_load_dwordx4 v[124:127], v[66:67], off offset:368
	global_load_dwordx4 v[128:131], v[66:67], off offset:352
	;; [unrolled: 1-line block ×15, first 2 shown]
	s_mov_b32 s2, 0x667f3bcd
	s_mov_b32 s3, 0xbfe6a09e
	;; [unrolled: 1-line block ×12, first 2 shown]
	v_mul_u32_u24_e32 v16, 0x190, v16
	v_add_u32_e32 v16, v16, v17
	v_lshl_add_u32 v94, v16, 4, v196
	s_waitcnt vmcnt(0) lgkmcnt(0)
	s_barrier
	buffer_store_dword v196, off, s[28:31], 0 ; 4-byte Folded Spill
	v_mul_f64 v[72:73], v[20:21], v[150:151]
	v_fma_f64 v[72:73], v[18:19], v[148:149], -v[72:73]
	v_mul_f64 v[18:19], v[18:19], v[150:151]
	v_fma_f64 v[18:19], v[20:21], v[148:149], v[18:19]
	v_mul_f64 v[20:21], v[24:25], v[134:135]
	v_fma_f64 v[20:21], v[22:23], v[132:133], -v[20:21]
	v_mul_f64 v[22:23], v[22:23], v[134:135]
	v_fma_f64 v[22:23], v[24:25], v[132:133], v[22:23]
	;; [unrolled: 4-line block ×8, first 2 shown]
	v_mul_f64 v[48:49], v[52:53], v[178:179]
	v_fma_f64 v[48:49], v[50:51], v[176:177], -v[48:49]
	v_mul_f64 v[50:51], v[50:51], v[178:179]
	v_add_f64 v[48:49], v[72:73], -v[48:49]
	v_fma_f64 v[50:51], v[52:53], v[176:177], v[50:51]
	v_mul_f64 v[52:53], v[56:57], v[162:163]
	v_add_f64 v[50:51], v[18:19], -v[50:51]
	v_fma_f64 v[52:53], v[54:55], v[160:161], -v[52:53]
	v_mul_f64 v[54:55], v[54:55], v[162:163]
	v_fma_f64 v[18:19], v[18:19], 2.0, -v[50:51]
	v_add_f64 v[52:53], v[20:21], -v[52:53]
	v_fma_f64 v[54:55], v[56:57], v[160:161], v[54:55]
	v_mul_f64 v[56:57], v[60:61], v[158:159]
	v_fma_f64 v[20:21], v[20:21], 2.0, -v[52:53]
	v_add_f64 v[54:55], v[22:23], -v[54:55]
	v_fma_f64 v[56:57], v[58:59], v[156:157], -v[56:57]
	v_mul_f64 v[58:59], v[58:59], v[158:159]
	v_fma_f64 v[22:23], v[22:23], 2.0, -v[54:55]
	v_add_f64 v[56:57], v[24:25], -v[56:57]
	v_fma_f64 v[58:59], v[60:61], v[156:157], v[58:59]
	v_mul_f64 v[60:61], v[64:65], v[154:155]
	v_fma_f64 v[24:25], v[24:25], 2.0, -v[56:57]
	v_add_f64 v[58:59], v[26:27], -v[58:59]
	v_fma_f64 v[60:61], v[62:63], v[152:153], -v[60:61]
	v_mul_f64 v[62:63], v[62:63], v[154:155]
	v_fma_f64 v[26:27], v[26:27], 2.0, -v[58:59]
	v_fma_f64 v[62:63], v[64:65], v[152:153], v[62:63]
	v_mul_f64 v[64:65], v[14:15], v[182:183]
	v_fma_f64 v[64:65], v[12:13], v[180:181], -v[64:65]
	v_mul_f64 v[12:13], v[12:13], v[182:183]
	v_add_f64 v[64:65], v[32:33], -v[64:65]
	v_fma_f64 v[12:13], v[14:15], v[180:181], v[12:13]
	v_mul_f64 v[14:15], v[10:11], v[174:175]
	v_fma_f64 v[32:33], v[32:33], 2.0, -v[64:65]
	v_add_f64 v[12:13], v[34:35], -v[12:13]
	v_fma_f64 v[14:15], v[8:9], v[172:173], -v[14:15]
	v_mul_f64 v[8:9], v[8:9], v[174:175]
	v_add_f64 v[64:65], v[50:51], v[64:65]
	v_fma_f64 v[34:35], v[34:35], 2.0, -v[12:13]
	v_add_f64 v[14:15], v[36:37], -v[14:15]
	v_fma_f64 v[8:9], v[10:11], v[172:173], v[8:9]
	v_mul_f64 v[10:11], v[6:7], v[170:171]
	v_add_f64 v[12:13], v[48:49], -v[12:13]
	v_fma_f64 v[50:51], v[50:51], 2.0, -v[64:65]
	v_add_f64 v[34:35], v[18:19], -v[34:35]
	v_fma_f64 v[36:37], v[36:37], 2.0, -v[14:15]
	v_add_f64 v[8:9], v[38:39], -v[8:9]
	v_fma_f64 v[10:11], v[4:5], v[168:169], -v[10:11]
	v_mul_f64 v[4:5], v[4:5], v[170:171]
	v_add_f64 v[14:15], v[54:55], v[14:15]
	v_fma_f64 v[18:19], v[18:19], 2.0, -v[34:35]
	v_add_f64 v[36:37], v[20:21], -v[36:37]
	v_fma_f64 v[38:39], v[38:39], 2.0, -v[8:9]
	v_add_f64 v[10:11], v[40:41], -v[10:11]
	v_fma_f64 v[4:5], v[6:7], v[168:169], v[4:5]
	v_add_f64 v[6:7], v[0:1], -v[44:45]
	v_add_f64 v[44:45], v[2:3], -v[46:47]
	;; [unrolled: 1-line block ×4, first 2 shown]
	v_fma_f64 v[62:63], v[72:73], 2.0, -v[48:49]
	v_add_f64 v[38:39], v[22:23], -v[38:39]
	v_fma_f64 v[20:21], v[20:21], 2.0, -v[36:37]
	v_add_f64 v[8:9], v[52:53], -v[8:9]
	v_fma_f64 v[0:1], v[0:1], 2.0, -v[6:7]
	v_fma_f64 v[2:3], v[2:3], 2.0, -v[44:45]
	;; [unrolled: 1-line block ×4, first 2 shown]
	v_add_f64 v[46:47], v[44:45], v[46:47]
	v_fma_f64 v[22:23], v[22:23], 2.0, -v[38:39]
	v_add_f64 v[60:61], v[6:7], -v[60:61]
	v_fma_f64 v[54:55], v[54:55], 2.0, -v[14:15]
	v_add_f64 v[4:5], v[42:43], -v[4:5]
	v_fma_f64 v[40:41], v[40:41], 2.0, -v[10:11]
	v_add_f64 v[28:29], v[0:1], -v[28:29]
	v_add_f64 v[30:31], v[2:3], -v[30:31]
	v_fma_f64 v[44:45], v[44:45], 2.0, -v[46:47]
	v_fma_f64 v[52:53], v[52:53], 2.0, -v[8:9]
	;; [unrolled: 1-line block ×3, first 2 shown]
	v_add_f64 v[32:33], v[62:63], -v[32:33]
	v_fma_f64 v[42:43], v[42:43], 2.0, -v[4:5]
	v_add_f64 v[40:41], v[24:25], -v[40:41]
	v_fma_f64 v[0:1], v[0:1], 2.0, -v[28:29]
	v_fma_f64 v[2:3], v[2:3], 2.0, -v[30:31]
	v_add_f64 v[4:5], v[56:57], -v[4:5]
	v_add_f64 v[10:11], v[58:59], v[10:11]
	v_fma_f64 v[48:49], v[48:49], 2.0, -v[12:13]
	v_fma_f64 v[62:63], v[62:63], 2.0, -v[32:33]
	v_add_f64 v[42:43], v[26:27], -v[42:43]
	v_fma_f64 v[24:25], v[24:25], 2.0, -v[40:41]
	v_add_f64 v[66:67], v[0:1], -v[20:21]
	v_add_f64 v[72:73], v[2:3], -v[22:23]
	v_fma_f64 v[56:57], v[56:57], 2.0, -v[4:5]
	v_fma_f64 v[58:59], v[58:59], 2.0, -v[10:11]
	v_add_f64 v[80:81], v[28:29], -v[38:39]
	v_add_f64 v[186:187], v[30:31], v[36:37]
	v_fma_f64 v[26:27], v[26:27], 2.0, -v[42:43]
	v_fma_f64 v[20:21], v[0:1], 2.0, -v[66:67]
	;; [unrolled: 1-line block ×3, first 2 shown]
	v_fma_f64 v[2:3], v[54:55], s[2:3], v[44:45]
	v_fma_f64 v[0:1], v[52:53], s[2:3], v[6:7]
	v_fma_f64 v[28:29], v[28:29], 2.0, -v[80:81]
	v_fma_f64 v[30:31], v[30:31], 2.0, -v[186:187]
	v_fma_f64 v[52:53], v[52:53], s[14:15], v[2:3]
	v_fma_f64 v[2:3], v[14:15], s[14:15], v[46:47]
	;; [unrolled: 1-line block ×4, first 2 shown]
	v_fma_f64 v[44:45], v[44:45], 2.0, -v[52:53]
	v_fma_f64 v[190:191], v[8:9], s[14:15], v[2:3]
	v_fma_f64 v[74:75], v[6:7], 2.0, -v[54:55]
	v_fma_f64 v[188:189], v[14:15], s[2:3], v[0:1]
	v_fma_f64 v[6:7], v[56:57], s[2:3], v[48:49]
	;; [unrolled: 1-line block ×3, first 2 shown]
	v_fma_f64 v[38:39], v[46:47], 2.0, -v[190:191]
	v_add_f64 v[46:47], v[62:63], -v[24:25]
	v_fma_f64 v[36:37], v[60:61], 2.0, -v[188:189]
	v_add_f64 v[60:61], v[18:19], -v[26:27]
	v_fma_f64 v[58:59], v[58:59], s[2:3], v[6:7]
	v_fma_f64 v[56:57], v[56:57], s[14:15], v[8:9]
	;; [unrolled: 1-line block ×4, first 2 shown]
	v_fma_f64 v[0:1], v[62:63], 2.0, -v[46:47]
	v_add_f64 v[62:63], v[32:33], -v[42:43]
	v_fma_f64 v[2:3], v[18:19], 2.0, -v[60:61]
	v_fma_f64 v[14:15], v[48:49], 2.0, -v[58:59]
	;; [unrolled: 1-line block ×3, first 2 shown]
	v_add_f64 v[50:51], v[34:35], v[40:41]
	v_fma_f64 v[192:193], v[10:11], s[2:3], v[6:7]
	v_fma_f64 v[194:195], v[4:5], s[14:15], v[26:27]
	v_add_f64 v[0:1], v[20:21], -v[0:1]
	v_fma_f64 v[24:25], v[32:33], 2.0, -v[62:63]
	v_add_f64 v[2:3], v[22:23], -v[2:3]
	v_fma_f64 v[10:11], v[14:15], s[22:23], v[74:75]
	v_fma_f64 v[42:43], v[58:59], s[18:19], v[54:55]
	v_fma_f64 v[18:19], v[34:35], 2.0, -v[50:51]
	v_fma_f64 v[32:33], v[12:13], 2.0, -v[192:193]
	v_fma_f64 v[12:13], v[8:9], s[22:23], v[44:45]
	v_fma_f64 v[4:5], v[20:21], 2.0, -v[0:1]
	v_fma_f64 v[20:21], v[24:25], s[2:3], v[28:29]
	;; [unrolled: 2-line block ×4, first 2 shown]
	v_fma_f64 v[42:43], v[56:57], s[22:23], v[42:43]
	v_fma_f64 v[10:11], v[14:15], s[18:19], v[12:13]
	v_add_f64 v[34:35], v[66:67], -v[60:61]
	v_fma_f64 v[18:19], v[18:19], s[2:3], v[20:21]
	v_fma_f64 v[60:61], v[194:195], s[24:25], v[190:191]
	v_fma_f64 v[12:13], v[74:75], 2.0, -v[8:9]
	v_fma_f64 v[20:21], v[24:25], s[14:15], v[22:23]
	v_fma_f64 v[14:15], v[44:45], 2.0, -v[10:11]
	;; [unrolled: 2-line block ×3, first 2 shown]
	v_fma_f64 v[28:29], v[32:33], s[20:21], v[36:37]
	v_fma_f64 v[250:251], v[192:193], s[18:19], v[60:61]
	v_fma_f64 v[24:25], v[30:31], 2.0, -v[20:21]
	v_fma_f64 v[30:31], v[26:27], s[20:21], v[38:39]
	v_fma_f64 v[44:45], v[58:59], s[24:25], v[44:45]
	;; [unrolled: 1-line block ×4, first 2 shown]
	v_fma_f64 v[60:61], v[190:191], 2.0, -v[250:251]
	v_fma_f64 v[28:29], v[32:33], s[24:25], v[30:31]
	v_fma_f64 v[48:49], v[52:53], 2.0, -v[44:45]
	v_fma_f64 v[52:53], v[62:63], s[14:15], v[80:81]
	v_fma_f64 v[30:31], v[36:37], 2.0, -v[26:27]
	v_add_f64 v[36:37], v[72:73], v[46:47]
	v_fma_f64 v[46:47], v[54:55], 2.0, -v[42:43]
	v_fma_f64 v[54:55], v[50:51], s[14:15], v[186:187]
	v_fma_f64 v[248:249], v[194:195], s[20:21], v[58:59]
	v_fma_f64 v[32:33], v[38:39], 2.0, -v[28:29]
	v_fma_f64 v[38:39], v[66:67], 2.0, -v[34:35]
	v_fma_f64 v[50:51], v[50:51], s[2:3], v[52:53]
	v_cmp_gt_u16_e64 s[2:3], 25, v93
	v_fma_f64 v[40:41], v[72:73], 2.0, -v[36:37]
	v_fma_f64 v[52:53], v[62:63], s[14:15], v[54:55]
	v_fma_f64 v[58:59], v[188:189], 2.0, -v[248:249]
	v_fma_f64 v[54:55], v[80:81], 2.0, -v[50:51]
	;; [unrolled: 1-line block ×3, first 2 shown]
	ds_write_b128 v94, v[4:7]
	ds_write_b128 v94, v[12:15] offset:400
	ds_write_b128 v94, v[22:25] offset:800
	;; [unrolled: 1-line block ×15, first 2 shown]
	s_waitcnt vmcnt(0) lgkmcnt(0)
	s_barrier
	ds_read_b128 v[16:19], v92
	ds_read_b128 v[56:59], v92 offset:6400
	ds_read_b128 v[52:55], v92 offset:12800
	;; [unrolled: 1-line block ×14, first 2 shown]
	s_and_saveexec_b64 s[14:15], s[2:3]
	s_cbranch_execz .LBB0_13
; %bb.12:
	ds_read_b128 v[248:251], v92 offset:6000
	ds_read_b128 v[240:243], v92 offset:12400
	;; [unrolled: 1-line block ×3, first 2 shown]
.LBB0_13:
	s_or_b64 exec, exec, s[14:15]
	v_lshlrev_b32_e32 v188, 5, v93
	v_add_co_u32_e32 v189, vcc, 0x177, v93
	v_addc_co_u32_e64 v190, s[14:15], 0, 0, vcc
	v_add_co_u32_e32 v62, vcc, s4, v188
	v_mov_b32_e32 v191, s5
	v_addc_co_u32_e32 v63, vcc, 0, v191, vcc
	s_movk_i32 s14, 0x18b0
	v_add_co_u32_e32 v60, vcc, s14, v62
	v_addc_co_u32_e32 v61, vcc, 0, v63, vcc
	s_movk_i32 s5, 0x1000
	v_add_co_u32_e32 v62, vcc, s5, v62
	v_addc_co_u32_e32 v63, vcc, 0, v63, vcc
	global_load_dwordx4 v[192:195], v[62:63], off offset:2224
	global_load_dwordx4 v[196:199], v[60:61], off offset:16
	s_movk_i32 s15, 0xffe7
	s_waitcnt vmcnt(1) lgkmcnt(13)
	v_mul_f64 v[60:61], v[58:59], v[194:195]
	v_fma_f64 v[60:61], v[56:57], v[192:193], -v[60:61]
	v_mul_f64 v[56:57], v[56:57], v[194:195]
	v_fma_f64 v[56:57], v[58:59], v[192:193], v[56:57]
	s_waitcnt vmcnt(0) lgkmcnt(12)
	v_mul_f64 v[58:59], v[54:55], v[198:199]
	v_fma_f64 v[58:59], v[52:53], v[196:197], -v[58:59]
	v_mul_f64 v[52:53], v[52:53], v[198:199]
	v_fma_f64 v[52:53], v[54:55], v[196:197], v[52:53]
	v_lshlrev_b32_e32 v54, 5, v185
	v_add_co_u32_e32 v62, vcc, s4, v54
	v_addc_co_u32_e32 v63, vcc, 0, v191, vcc
	v_add_co_u32_e32 v54, vcc, s14, v62
	v_addc_co_u32_e32 v55, vcc, 0, v63, vcc
	v_add_co_u32_e32 v62, vcc, s5, v62
	v_addc_co_u32_e32 v63, vcc, 0, v63, vcc
	global_load_dwordx4 v[204:207], v[62:63], off offset:2224
	global_load_dwordx4 v[200:203], v[54:55], off offset:16
	s_waitcnt vmcnt(1) lgkmcnt(10)
	v_mul_f64 v[54:55], v[50:51], v[206:207]
	v_fma_f64 v[54:55], v[48:49], v[204:205], -v[54:55]
	v_mul_f64 v[48:49], v[48:49], v[206:207]
	v_fma_f64 v[48:49], v[50:51], v[204:205], v[48:49]
	s_waitcnt vmcnt(0) lgkmcnt(9)
	v_mul_f64 v[50:51], v[46:47], v[202:203]
	v_fma_f64 v[50:51], v[44:45], v[200:201], -v[50:51]
	v_mul_f64 v[44:45], v[44:45], v[202:203]
	v_fma_f64 v[62:63], v[46:47], v[200:201], v[44:45]
	v_lshlrev_b32_e32 v44, 5, v184
	v_add_co_u32_e32 v46, vcc, s4, v44
	v_addc_co_u32_e32 v47, vcc, 0, v191, vcc
	v_add_co_u32_e32 v44, vcc, s14, v46
	v_addc_co_u32_e32 v45, vcc, 0, v47, vcc
	v_add_co_u32_e32 v46, vcc, s5, v46
	v_addc_co_u32_e32 v47, vcc, 0, v47, vcc
	global_load_dwordx4 v[208:211], v[46:47], off offset:2224
	global_load_dwordx4 v[212:215], v[44:45], off offset:16
	;; [unrolled: 19-line block ×3, first 2 shown]
	s_waitcnt vmcnt(1) lgkmcnt(4)
	v_mul_f64 v[36:37], v[34:35], v[222:223]
	v_fma_f64 v[36:37], v[32:33], v[220:221], -v[36:37]
	v_mul_f64 v[32:33], v[32:33], v[222:223]
	v_fma_f64 v[80:81], v[34:35], v[220:221], v[32:33]
	s_waitcnt vmcnt(0) lgkmcnt(3)
	v_mul_f64 v[32:33], v[30:31], v[218:219]
	v_add_f64 v[34:35], v[60:61], -v[58:59]
	v_fma_f64 v[184:185], v[28:29], v[216:217], -v[32:33]
	v_mul_f64 v[28:29], v[28:29], v[218:219]
	v_fma_f64 v[186:187], v[30:31], v[216:217], v[28:29]
	v_add_u32_e32 v28, 0x2580, v188
	v_add_co_u32_e32 v30, vcc, s4, v28
	v_addc_co_u32_e32 v31, vcc, 0, v191, vcc
	v_add_co_u32_e32 v28, vcc, s14, v30
	v_addc_co_u32_e32 v29, vcc, 0, v31, vcc
	;; [unrolled: 2-line block ×3, first 2 shown]
	global_load_dwordx4 v[224:227], v[30:31], off offset:2224
	global_load_dwordx4 v[228:231], v[28:29], off offset:16
	s_waitcnt vmcnt(1) lgkmcnt(1)
	v_mul_f64 v[28:29], v[26:27], v[226:227]
	v_fma_f64 v[28:29], v[24:25], v[224:225], -v[28:29]
	v_mul_f64 v[24:25], v[24:25], v[226:227]
	v_fma_f64 v[24:25], v[26:27], v[224:225], v[24:25]
	s_waitcnt vmcnt(0) lgkmcnt(0)
	v_mul_f64 v[26:27], v[22:23], v[230:231]
	v_fma_f64 v[26:27], v[20:21], v[228:229], -v[26:27]
	v_mul_f64 v[20:21], v[20:21], v[230:231]
	v_fma_f64 v[20:21], v[22:23], v[228:229], v[20:21]
	v_add_co_u32_e32 v22, vcc, s15, v93
	v_addc_co_u32_e64 v23, s[18:19], 0, -1, vcc
	v_cndmask_b32_e64 v23, v23, v190, s[2:3]
	v_cndmask_b32_e64 v22, v22, v189, s[2:3]
	v_lshlrev_b64 v[22:23], 5, v[22:23]
	s_mov_b32 s15, 0xbfebb67a
	v_add_co_u32_e32 v30, vcc, s4, v22
	v_addc_co_u32_e32 v31, vcc, v191, v23, vcc
	v_add_co_u32_e32 v22, vcc, s14, v30
	v_addc_co_u32_e32 v23, vcc, 0, v31, vcc
	v_add_co_u32_e32 v30, vcc, s5, v30
	v_addc_co_u32_e32 v31, vcc, 0, v31, vcc
	global_load_dwordx4 v[30:33], v[30:31], off offset:2224
	s_nop 0
	global_load_dwordx4 v[38:41], v[22:23], off offset:16
	s_mov_b32 s4, 0xe8584caa
	s_mov_b32 s5, 0x3febb67a
	;; [unrolled: 1-line block ×3, first 2 shown]
	s_waitcnt vmcnt(1)
	v_mul_f64 v[22:23], v[242:243], v[32:33]
	v_fma_f64 v[188:189], v[240:241], v[30:31], -v[22:23]
	v_mul_f64 v[22:23], v[240:241], v[32:33]
	buffer_store_dword v30, off, s[28:31], 0 offset:364 ; 4-byte Folded Spill
	s_nop 0
	buffer_store_dword v31, off, s[28:31], 0 offset:368 ; 4-byte Folded Spill
	buffer_store_dword v32, off, s[28:31], 0 offset:372 ; 4-byte Folded Spill
	;; [unrolled: 1-line block ×3, first 2 shown]
	v_add_f64 v[32:33], v[56:57], -v[52:53]
	v_fma_f64 v[190:191], v[242:243], v[30:31], v[22:23]
	s_waitcnt vmcnt(4)
	v_mul_f64 v[22:23], v[246:247], v[40:41]
	v_fma_f64 v[252:253], v[244:245], v[38:39], -v[22:23]
	v_mul_f64 v[22:23], v[244:245], v[40:41]
	buffer_store_dword v38, off, s[28:31], 0 offset:380 ; 4-byte Folded Spill
	s_nop 0
	buffer_store_dword v39, off, s[28:31], 0 offset:384 ; 4-byte Folded Spill
	buffer_store_dword v40, off, s[28:31], 0 offset:388 ; 4-byte Folded Spill
	;; [unrolled: 1-line block ×3, first 2 shown]
	v_fma_f64 v[246:247], v[246:247], v[38:39], v[22:23]
	v_add_f64 v[22:23], v[16:17], v[60:61]
	v_add_f64 v[30:31], v[22:23], v[58:59]
	;; [unrolled: 1-line block ×3, first 2 shown]
	v_fma_f64 v[22:23], v[22:23], -0.5, v[16:17]
	v_fma_f64 v[16:17], v[32:33], s[4:5], v[22:23]
	v_fma_f64 v[38:39], v[32:33], s[14:15], v[22:23]
	v_add_f64 v[22:23], v[18:19], v[56:57]
	v_add_f64 v[32:33], v[22:23], v[52:53]
	;; [unrolled: 1-line block ×3, first 2 shown]
	ds_write_b128 v92, v[30:33]
	v_fma_f64 v[22:23], v[22:23], -0.5, v[18:19]
	v_fma_f64 v[18:19], v[34:35], s[14:15], v[22:23]
	v_fma_f64 v[40:41], v[34:35], s[4:5], v[22:23]
	v_add_f64 v[22:23], v[12:13], v[54:55]
	v_add_f64 v[34:35], v[48:49], -v[62:63]
	v_add_f64 v[42:43], v[22:23], v[50:51]
	v_add_f64 v[22:23], v[54:55], v[50:51]
	v_fma_f64 v[22:23], v[22:23], -0.5, v[12:13]
	v_fma_f64 v[12:13], v[34:35], s[4:5], v[22:23]
	v_fma_f64 v[46:47], v[34:35], s[14:15], v[22:23]
	v_add_f64 v[22:23], v[14:15], v[48:49]
	v_add_f64 v[34:35], v[54:55], -v[50:51]
	v_add_f64 v[44:45], v[22:23], v[62:63]
	v_add_f64 v[22:23], v[48:49], v[62:63]
	;; [unrolled: 7-line block ×3, first 2 shown]
	v_fma_f64 v[22:23], v[22:23], -0.5, v[8:9]
	v_fma_f64 v[8:9], v[34:35], s[4:5], v[22:23]
	v_fma_f64 v[54:55], v[34:35], s[14:15], v[22:23]
	v_add_f64 v[22:23], v[10:11], v[66:67]
	v_add_f64 v[34:35], v[64:65], -v[72:73]
	v_add_f64 v[64:65], v[24:25], -v[20:21]
	v_add_f64 v[52:53], v[22:23], v[74:75]
	v_add_f64 v[22:23], v[66:67], v[74:75]
	v_fma_f64 v[22:23], v[22:23], -0.5, v[10:11]
	v_fma_f64 v[10:11], v[34:35], s[14:15], v[22:23]
	v_fma_f64 v[56:57], v[34:35], s[4:5], v[22:23]
	v_add_f64 v[22:23], v[4:5], v[36:37]
	v_add_f64 v[34:35], v[80:81], -v[186:187]
	v_add_f64 v[58:59], v[22:23], v[184:185]
	v_add_f64 v[22:23], v[36:37], v[184:185]
	v_add_f64 v[36:37], v[36:37], -v[184:185]
	v_fma_f64 v[22:23], v[22:23], -0.5, v[4:5]
	v_fma_f64 v[4:5], v[34:35], s[4:5], v[22:23]
	v_fma_f64 v[34:35], v[34:35], s[14:15], v[22:23]
	v_add_f64 v[22:23], v[6:7], v[80:81]
	v_add_f64 v[60:61], v[22:23], v[186:187]
	v_add_f64 v[22:23], v[80:81], v[186:187]
	v_fma_f64 v[22:23], v[22:23], -0.5, v[6:7]
	v_fma_f64 v[6:7], v[36:37], s[14:15], v[22:23]
	v_fma_f64 v[36:37], v[36:37], s[4:5], v[22:23]
	v_add_f64 v[22:23], v[0:1], v[28:29]
	v_add_f64 v[62:63], v[22:23], v[26:27]
	v_add_f64 v[22:23], v[28:29], v[26:27]
	;; [unrolled: 6-line block ×3, first 2 shown]
	v_add_f64 v[24:25], v[28:29], -v[26:27]
	v_add_f64 v[26:27], v[190:191], -v[246:247]
	v_fma_f64 v[20:21], v[20:21], -0.5, v[2:3]
	v_fma_f64 v[2:3], v[24:25], s[14:15], v[20:21]
	v_fma_f64 v[24:25], v[24:25], s[4:5], v[20:21]
	v_add_f64 v[20:21], v[248:249], v[188:189]
	v_add_f64 v[240:241], v[20:21], v[252:253]
	;; [unrolled: 1-line block ×3, first 2 shown]
	v_fma_f64 v[20:21], v[20:21], -0.5, v[248:249]
	v_fma_f64 v[244:245], v[26:27], s[4:5], v[20:21]
	v_fma_f64 v[248:249], v[26:27], s[14:15], v[20:21]
	v_add_f64 v[20:21], v[250:251], v[190:191]
	v_add_f64 v[26:27], v[188:189], -v[252:253]
	v_add_f64 v[242:243], v[20:21], v[246:247]
	v_add_f64 v[20:21], v[190:191], v[246:247]
	v_fma_f64 v[20:21], v[20:21], -0.5, v[250:251]
	v_fma_f64 v[246:247], v[26:27], s[14:15], v[20:21]
	v_fma_f64 v[250:251], v[26:27], s[4:5], v[20:21]
	buffer_load_dword v20, off, s[28:31], 0 ; 4-byte Folded Reload
	s_waitcnt vmcnt(0)
	v_lshl_add_u32 v95, v93, 4, v20
	ds_write_b128 v95, v[16:19] offset:6400
	ds_write_b128 v95, v[38:41] offset:12800
	ds_write_b128 v92, v[42:45] offset:1200
	ds_write_b128 v95, v[12:15] offset:7600
	ds_write_b128 v95, v[46:49] offset:14000
	ds_write_b128 v92, v[50:53] offset:2400
	ds_write_b128 v92, v[8:11] offset:8800
	ds_write_b128 v92, v[54:57] offset:15200
	ds_write_b128 v95, v[58:61] offset:3600
	ds_write_b128 v92, v[4:7] offset:10000
	ds_write_b128 v92, v[34:37] offset:16400
	ds_write_b128 v95, v[62:65] offset:4800
	ds_write_b128 v92, v[0:3] offset:11200
	ds_write_b128 v92, v[22:25] offset:17600
	s_and_saveexec_b64 s[4:5], s[2:3]
	s_cbranch_execz .LBB0_15
; %bb.14:
	ds_write_b128 v95, v[240:243] offset:6000
	ds_write_b128 v95, v[244:247] offset:12400
	;; [unrolled: 1-line block ×3, first 2 shown]
.LBB0_15:
	s_or_b64 exec, exec, s[4:5]
	v_mov_b32_e32 v0, s17
	v_addc_co_u32_e64 v2, vcc, 0, v0, s[6:7]
	s_movk_i32 s4, 0x4b00
	v_add_co_u32_e32 v0, vcc, s4, v82
	v_addc_co_u32_e32 v1, vcc, 0, v2, vcc
	s_movk_i32 s6, 0x4000
	v_add_co_u32_e32 v7, vcc, s6, v82
	v_addc_co_u32_e32 v8, vcc, 0, v2, vcc
	s_waitcnt lgkmcnt(0)
	s_barrier
	global_load_dwordx4 v[7:10], v[7:8], off offset:2816
	ds_read_b128 v[3:6], v92
	s_movk_i32 s4, 0x6000
	v_add_co_u32_e32 v15, vcc, s4, v82
	v_addc_co_u32_e32 v16, vcc, 0, v2, vcc
	s_movk_i32 s4, 0x7000
	v_add_co_u32_e32 v17, vcc, s4, v82
	v_addc_co_u32_e32 v18, vcc, 0, v2, vcc
	s_mov_b32 s4, 0x8000
	v_add_co_u32_e32 v19, vcc, s4, v82
	v_addc_co_u32_e32 v20, vcc, 0, v2, vcc
	s_movk_i32 s4, 0x5000
	s_waitcnt vmcnt(0) lgkmcnt(0)
	v_mul_f64 v[11:12], v[5:6], v[9:10]
	v_fma_f64 v[11:12], v[3:4], v[7:8], -v[11:12]
	v_mul_f64 v[3:4], v[3:4], v[9:10]
	v_fma_f64 v[13:14], v[5:6], v[7:8], v[3:4]
	global_load_dwordx4 v[7:10], v[0:1], off offset:3840
	ds_read_b128 v[3:6], v92 offset:3840
	ds_write_b128 v92, v[11:14]
	s_waitcnt vmcnt(0) lgkmcnt(1)
	v_mul_f64 v[11:12], v[5:6], v[9:10]
	v_fma_f64 v[11:12], v[3:4], v[7:8], -v[11:12]
	v_mul_f64 v[3:4], v[3:4], v[9:10]
	v_fma_f64 v[13:14], v[5:6], v[7:8], v[3:4]
	global_load_dwordx4 v[7:10], v[15:16], off offset:2304
	ds_read_b128 v[3:6], v92 offset:7680
	ds_write_b128 v92, v[11:14] offset:3840
	s_waitcnt vmcnt(0) lgkmcnt(1)
	v_mul_f64 v[11:12], v[5:6], v[9:10]
	v_fma_f64 v[11:12], v[3:4], v[7:8], -v[11:12]
	v_mul_f64 v[3:4], v[3:4], v[9:10]
	v_fma_f64 v[13:14], v[5:6], v[7:8], v[3:4]
	global_load_dwordx4 v[7:10], v[17:18], off offset:2048
	ds_read_b128 v[3:6], v92 offset:11520
	ds_write_b128 v92, v[11:14] offset:7680
	;; [unrolled: 8-line block ×4, first 2 shown]
	s_waitcnt vmcnt(0) lgkmcnt(1)
	v_mul_f64 v[11:12], v[5:6], v[9:10]
	v_fma_f64 v[11:12], v[3:4], v[7:8], -v[11:12]
	v_mul_f64 v[3:4], v[3:4], v[9:10]
	v_fma_f64 v[13:14], v[5:6], v[7:8], v[3:4]
	v_add_co_u32_e32 v7, vcc, s4, v82
	v_addc_co_u32_e32 v8, vcc, 0, v2, vcc
	global_load_dwordx4 v[7:10], v[7:8], off offset:3760
	ds_read_b128 v[3:6], v92 offset:5040
	s_mov_b32 s4, 0x9000
	ds_write_b128 v92, v[11:14] offset:1200
	s_waitcnt vmcnt(0) lgkmcnt(1)
	v_mul_f64 v[11:12], v[5:6], v[9:10]
	v_fma_f64 v[11:12], v[3:4], v[7:8], -v[11:12]
	v_mul_f64 v[3:4], v[3:4], v[9:10]
	v_fma_f64 v[13:14], v[5:6], v[7:8], v[3:4]
	global_load_dwordx4 v[7:10], v[15:16], off offset:3504
	ds_read_b128 v[3:6], v92 offset:8880
	ds_write_b128 v92, v[11:14] offset:5040
	s_waitcnt vmcnt(0) lgkmcnt(1)
	v_mul_f64 v[11:12], v[5:6], v[9:10]
	v_fma_f64 v[11:12], v[3:4], v[7:8], -v[11:12]
	v_mul_f64 v[3:4], v[3:4], v[9:10]
	v_fma_f64 v[13:14], v[5:6], v[7:8], v[3:4]
	global_load_dwordx4 v[7:10], v[17:18], off offset:3248
	ds_read_b128 v[3:6], v92 offset:12720
	;; [unrolled: 8-line block ×7, first 2 shown]
	ds_write_b128 v92, v[11:14] offset:10080
	s_waitcnt vmcnt(0) lgkmcnt(1)
	v_mul_f64 v[11:12], v[5:6], v[9:10]
	v_fma_f64 v[11:12], v[3:4], v[7:8], -v[11:12]
	v_mul_f64 v[3:4], v[3:4], v[9:10]
	v_fma_f64 v[13:14], v[5:6], v[7:8], v[3:4]
	v_add_co_u32_e32 v7, vcc, s4, v82
	v_addc_co_u32_e32 v8, vcc, 0, v2, vcc
	global_load_dwordx4 v[7:10], v[7:8], off offset:96
	ds_read_b128 v[3:6], v92 offset:17760
	ds_write_b128 v92, v[11:14] offset:13920
	s_waitcnt vmcnt(0) lgkmcnt(1)
	v_mul_f64 v[11:12], v[5:6], v[9:10]
	v_fma_f64 v[11:12], v[3:4], v[7:8], -v[11:12]
	v_mul_f64 v[2:3], v[3:4], v[9:10]
	v_fma_f64 v[13:14], v[5:6], v[7:8], v[2:3]
	ds_write_b128 v92, v[11:14] offset:17760
	s_and_saveexec_b64 s[4:5], s[0:1]
	s_cbranch_execz .LBB0_17
; %bb.16:
	global_load_dwordx4 v[6:9], v[0:1], off offset:3600
	ds_read_b128 v[2:5], v95 offset:3600
	s_movk_i32 s7, 0x1000
	s_waitcnt vmcnt(0) lgkmcnt(0)
	v_mul_f64 v[10:11], v[4:5], v[8:9]
	v_fma_f64 v[10:11], v[2:3], v[6:7], -v[10:11]
	v_mul_f64 v[2:3], v[2:3], v[8:9]
	v_fma_f64 v[12:13], v[4:5], v[6:7], v[2:3]
	v_add_co_u32_e32 v6, vcc, s7, v0
	v_addc_co_u32_e32 v7, vcc, 0, v1, vcc
	global_load_dwordx4 v[6:9], v[6:7], off offset:3344
	s_movk_i32 s7, 0x2000
	ds_write_b128 v95, v[10:13] offset:3600
	ds_read_b128 v[2:5], v92 offset:7440
	s_waitcnt vmcnt(0) lgkmcnt(0)
	v_mul_f64 v[10:11], v[4:5], v[8:9]
	v_fma_f64 v[10:11], v[2:3], v[6:7], -v[10:11]
	v_mul_f64 v[2:3], v[2:3], v[8:9]
	v_fma_f64 v[12:13], v[4:5], v[6:7], v[2:3]
	v_add_co_u32_e32 v6, vcc, s7, v0
	v_addc_co_u32_e32 v7, vcc, 0, v1, vcc
	global_load_dwordx4 v[6:9], v[6:7], off offset:3088
	ds_read_b128 v[2:5], v92 offset:11280
	s_movk_i32 s7, 0x3000
	ds_write_b128 v92, v[10:13] offset:7440
	s_waitcnt vmcnt(0) lgkmcnt(1)
	v_mul_f64 v[10:11], v[4:5], v[8:9]
	v_fma_f64 v[10:11], v[2:3], v[6:7], -v[10:11]
	v_mul_f64 v[2:3], v[2:3], v[8:9]
	v_fma_f64 v[12:13], v[4:5], v[6:7], v[2:3]
	v_add_co_u32_e32 v6, vcc, s7, v0
	v_addc_co_u32_e32 v7, vcc, 0, v1, vcc
	global_load_dwordx4 v[6:9], v[6:7], off offset:2832
	ds_read_b128 v[2:5], v92 offset:15120
	v_add_co_u32_e32 v0, vcc, s6, v0
	ds_write_b128 v92, v[10:13] offset:11280
	v_addc_co_u32_e32 v1, vcc, 0, v1, vcc
	s_waitcnt vmcnt(0) lgkmcnt(1)
	v_mul_f64 v[10:11], v[4:5], v[8:9]
	v_fma_f64 v[10:11], v[2:3], v[6:7], -v[10:11]
	v_mul_f64 v[2:3], v[2:3], v[8:9]
	v_fma_f64 v[12:13], v[4:5], v[6:7], v[2:3]
	global_load_dwordx4 v[6:9], v[0:1], off offset:2576
	ds_read_b128 v[2:5], v92 offset:18960
	ds_write_b128 v92, v[10:13] offset:15120
	s_waitcnt vmcnt(0) lgkmcnt(1)
	v_mul_f64 v[0:1], v[4:5], v[8:9]
	v_fma_f64 v[0:1], v[2:3], v[6:7], -v[0:1]
	v_mul_f64 v[2:3], v[2:3], v[8:9]
	v_fma_f64 v[2:3], v[4:5], v[6:7], v[2:3]
	ds_write_b128 v92, v[0:3] offset:18960
.LBB0_17:
	s_or_b64 exec, exec, s[4:5]
	s_waitcnt lgkmcnt(0)
	s_barrier
	ds_read_b128 v[28:31], v92
	ds_read_b128 v[48:51], v92 offset:1200
	ds_read_b128 v[34:37], v92 offset:7680
	;; [unrolled: 1-line block ×14, first 2 shown]
	s_and_saveexec_b64 s[4:5], s[0:1]
	s_cbranch_execz .LBB0_19
; %bb.18:
	ds_read_b128 v[240:243], v95 offset:3600
	ds_read_b128 v[244:247], v95 offset:7440
	;; [unrolled: 1-line block ×5, first 2 shown]
.LBB0_19:
	s_or_b64 exec, exec, s[4:5]
	s_waitcnt lgkmcnt(4)
	v_add_f64 v[2:3], v[34:35], v[60:61]
	v_add_f64 v[6:7], v[44:45], -v[40:41]
	s_mov_b32 s14, 0x134454ff
	s_mov_b32 s15, 0xbfee6f0e
	;; [unrolled: 1-line block ×4, first 2 shown]
	v_add_f64 v[10:11], v[36:37], -v[62:63]
	v_add_f64 v[8:9], v[42:43], -v[34:35]
	v_fma_f64 v[2:3], v[2:3], -0.5, v[28:29]
	v_add_f64 v[32:33], v[38:39], -v[60:61]
	s_mov_b32 s6, 0x4755a5e
	s_mov_b32 s7, 0xbfe2cf23
	s_mov_b32 s19, 0x3fe2cf23
	s_mov_b32 s18, s6
	s_mov_b32 s4, 0x372fe950
	s_mov_b32 s5, 0x3fd3c6ef
	v_fma_f64 v[4:5], v[6:7], s[14:15], v[2:3]
	v_fma_f64 v[2:3], v[6:7], s[16:17], v[2:3]
	v_add_f64 v[32:33], v[8:9], v[32:33]
	v_add_f64 v[0:1], v[28:29], v[42:43]
	v_add_f64 v[46:47], v[60:61], -v[38:39]
	s_waitcnt lgkmcnt(2)
	v_add_f64 v[64:65], v[58:59], -v[190:191]
	s_waitcnt lgkmcnt(0)
	v_add_f64 v[66:67], v[24:25], -v[20:21]
	v_add_f64 v[80:81], v[250:251], -v[246:247]
	v_fma_f64 v[4:5], v[10:11], s[6:7], v[4:5]
	v_fma_f64 v[2:3], v[10:11], s[18:19], v[2:3]
	v_add_f64 v[0:1], v[0:1], v[34:35]
	s_barrier
	v_fma_f64 v[8:9], v[32:33], s[4:5], v[4:5]
	v_fma_f64 v[4:5], v[32:33], s[4:5], v[2:3]
	v_add_f64 v[2:3], v[42:43], v[38:39]
	v_add_f64 v[0:1], v[0:1], v[60:61]
	v_add_f64 v[32:33], v[34:35], -v[42:43]
	v_fma_f64 v[2:3], v[2:3], -0.5, v[28:29]
	v_add_f64 v[0:1], v[0:1], v[38:39]
	v_add_f64 v[46:47], v[32:33], v[46:47]
	v_add_f64 v[38:39], v[42:43], -v[38:39]
	v_add_f64 v[42:43], v[34:35], -v[60:61]
	;; [unrolled: 1-line block ×4, first 2 shown]
	v_fma_f64 v[28:29], v[10:11], s[16:17], v[2:3]
	v_fma_f64 v[2:3], v[10:11], s[14:15], v[2:3]
	;; [unrolled: 1-line block ×4, first 2 shown]
	v_add_f64 v[6:7], v[36:37], v[62:63]
	v_fma_f64 v[32:33], v[46:47], s[4:5], v[28:29]
	v_fma_f64 v[28:29], v[46:47], s[4:5], v[2:3]
	v_fma_f64 v[6:7], v[6:7], -0.5, v[30:31]
	v_add_f64 v[46:47], v[40:41], -v[62:63]
	v_add_f64 v[2:3], v[30:31], v[44:45]
	v_fma_f64 v[10:11], v[38:39], s[16:17], v[6:7]
	v_fma_f64 v[6:7], v[38:39], s[14:15], v[6:7]
	v_add_f64 v[34:35], v[34:35], v[46:47]
	v_add_f64 v[2:3], v[2:3], v[36:37]
	v_add_f64 v[36:37], v[36:37], -v[44:45]
	v_add_f64 v[46:47], v[54:55], -v[190:191]
	v_fma_f64 v[10:11], v[42:43], s[18:19], v[10:11]
	v_fma_f64 v[6:7], v[42:43], s[6:7], v[6:7]
	v_add_f64 v[2:3], v[2:3], v[62:63]
	v_fma_f64 v[10:11], v[34:35], s[4:5], v[10:11]
	v_fma_f64 v[6:7], v[34:35], s[4:5], v[6:7]
	v_add_f64 v[34:35], v[44:45], v[40:41]
	v_add_f64 v[2:3], v[2:3], v[40:41]
	v_add_f64 v[40:41], v[62:63], -v[40:41]
	v_add_f64 v[44:45], v[184:185], -v[52:53]
	;; [unrolled: 1-line block ×3, first 2 shown]
	v_fma_f64 v[30:31], v[34:35], -0.5, v[30:31]
	v_add_f64 v[36:37], v[36:37], v[40:41]
	v_add_f64 v[60:61], v[44:45], v[60:61]
	v_fma_f64 v[34:35], v[42:43], s[14:15], v[30:31]
	v_fma_f64 v[30:31], v[42:43], s[16:17], v[30:31]
	v_add_f64 v[42:43], v[186:187], -v[58:59]
	v_fma_f64 v[34:35], v[38:39], s[18:19], v[34:35]
	v_fma_f64 v[30:31], v[38:39], s[6:7], v[30:31]
	v_add_f64 v[38:39], v[52:53], v[188:189]
	v_fma_f64 v[34:35], v[36:37], s[4:5], v[34:35]
	v_fma_f64 v[30:31], v[36:37], s[4:5], v[30:31]
	v_fma_f64 v[38:39], v[38:39], -0.5, v[48:49]
	v_add_f64 v[36:37], v[48:49], v[184:185]
	v_fma_f64 v[40:41], v[42:43], s[14:15], v[38:39]
	v_fma_f64 v[38:39], v[42:43], s[16:17], v[38:39]
	v_add_f64 v[36:37], v[36:37], v[52:53]
	v_fma_f64 v[40:41], v[46:47], s[6:7], v[40:41]
	v_fma_f64 v[38:39], v[46:47], s[18:19], v[38:39]
	;; [unrolled: 3-line block ×3, first 2 shown]
	v_add_f64 v[38:39], v[184:185], v[56:57]
	v_add_f64 v[60:61], v[52:53], -v[184:185]
	v_add_f64 v[36:37], v[36:37], v[56:57]
	v_add_f64 v[56:57], v[184:185], -v[56:57]
	v_add_f64 v[52:53], v[52:53], -v[188:189]
	v_fma_f64 v[38:39], v[38:39], -0.5, v[48:49]
	v_add_f64 v[62:63], v[60:61], v[62:63]
	v_fma_f64 v[48:49], v[46:47], s[16:17], v[38:39]
	v_fma_f64 v[38:39], v[46:47], s[14:15], v[38:39]
	v_fma_f64 v[48:49], v[42:43], s[6:7], v[48:49]
	v_fma_f64 v[38:39], v[42:43], s[18:19], v[38:39]
	v_add_f64 v[42:43], v[54:55], v[190:191]
	v_fma_f64 v[60:61], v[62:63], s[4:5], v[48:49]
	v_fma_f64 v[48:49], v[62:63], s[4:5], v[38:39]
	v_fma_f64 v[42:43], v[42:43], -0.5, v[50:51]
	v_add_f64 v[62:63], v[186:187], -v[54:55]
	v_add_f64 v[38:39], v[50:51], v[186:187]
	v_fma_f64 v[46:47], v[56:57], s[16:17], v[42:43]
	v_fma_f64 v[42:43], v[56:57], s[14:15], v[42:43]
	v_add_f64 v[62:63], v[62:63], v[64:65]
	v_add_f64 v[38:39], v[38:39], v[54:55]
	v_add_f64 v[54:55], v[54:55], -v[186:187]
	v_add_f64 v[64:65], v[252:253], -v[16:17]
	v_fma_f64 v[46:47], v[52:53], s[18:19], v[46:47]
	v_fma_f64 v[42:43], v[52:53], s[6:7], v[42:43]
	v_add_f64 v[38:39], v[38:39], v[190:191]
	v_add_f64 v[66:67], v[64:65], v[66:67]
	v_fma_f64 v[46:47], v[62:63], s[4:5], v[46:47]
	v_fma_f64 v[42:43], v[62:63], s[4:5], v[42:43]
	v_add_f64 v[62:63], v[186:187], v[58:59]
	v_add_f64 v[38:39], v[38:39], v[58:59]
	v_add_f64 v[58:59], v[190:191], -v[58:59]
	v_fma_f64 v[50:51], v[62:63], -0.5, v[50:51]
	v_add_f64 v[54:55], v[54:55], v[58:59]
	v_add_f64 v[58:59], v[18:19], -v[22:23]
	v_fma_f64 v[62:63], v[52:53], s[14:15], v[50:51]
	v_fma_f64 v[50:51], v[52:53], s[16:17], v[50:51]
	v_add_f64 v[52:53], v[12:13], v[252:253]
	v_fma_f64 v[62:63], v[56:57], s[18:19], v[62:63]
	v_fma_f64 v[50:51], v[56:57], s[6:7], v[50:51]
	v_add_f64 v[52:53], v[52:53], v[16:17]
	;; [unrolled: 3-line block ×3, first 2 shown]
	v_add_f64 v[54:55], v[254:255], -v[26:27]
	v_add_f64 v[184:185], v[52:53], v[24:25]
	v_add_f64 v[52:53], v[16:17], v[20:21]
	v_fma_f64 v[52:53], v[52:53], -0.5, v[12:13]
	v_fma_f64 v[56:57], v[54:55], s[14:15], v[52:53]
	v_fma_f64 v[52:53], v[54:55], s[16:17], v[52:53]
	;; [unrolled: 1-line block ×6, first 2 shown]
	v_add_f64 v[52:53], v[252:253], v[24:25]
	v_add_f64 v[56:57], v[16:17], -v[252:253]
	v_add_f64 v[66:67], v[20:21], -v[24:25]
	;; [unrolled: 1-line block ×4, first 2 shown]
	v_fma_f64 v[52:53], v[52:53], -0.5, v[12:13]
	v_add_f64 v[56:57], v[56:57], v[66:67]
	v_fma_f64 v[12:13], v[58:59], s[16:17], v[52:53]
	v_fma_f64 v[52:53], v[58:59], s[14:15], v[52:53]
	v_add_f64 v[58:59], v[234:235], -v[238:239]
	v_fma_f64 v[12:13], v[54:55], s[6:7], v[12:13]
	v_fma_f64 v[52:53], v[54:55], s[18:19], v[52:53]
	;; [unrolled: 1-line block ×4, first 2 shown]
	v_add_f64 v[52:53], v[14:15], v[254:255]
	v_add_f64 v[56:57], v[26:27], -v[22:23]
	v_add_f64 v[52:53], v[52:53], v[18:19]
	v_add_f64 v[52:53], v[52:53], v[22:23]
	;; [unrolled: 1-line block ×4, first 2 shown]
	v_add_f64 v[22:23], v[22:23], -v[26:27]
	v_fma_f64 v[52:53], v[52:53], -0.5, v[14:15]
	v_fma_f64 v[54:55], v[24:25], s[16:17], v[52:53]
	v_fma_f64 v[20:21], v[16:17], s[18:19], v[54:55]
	v_add_f64 v[54:55], v[254:255], -v[18:19]
	v_add_f64 v[18:19], v[18:19], -v[254:255]
	v_add_f64 v[54:55], v[54:55], v[56:57]
	v_add_f64 v[18:19], v[18:19], v[22:23]
	v_add_f64 v[22:23], v[246:247], -v[234:235]
	v_fma_f64 v[66:67], v[54:55], s[4:5], v[20:21]
	v_fma_f64 v[20:21], v[24:25], s[14:15], v[52:53]
	v_add_f64 v[52:53], v[248:249], -v[244:245]
	v_fma_f64 v[20:21], v[16:17], s[6:7], v[20:21]
	v_fma_f64 v[190:191], v[54:55], s[4:5], v[20:21]
	v_add_f64 v[20:21], v[254:255], v[26:27]
	v_add_f64 v[26:27], v[232:233], -v[236:237]
	v_add_f64 v[54:55], v[236:237], -v[232:233]
	v_fma_f64 v[20:21], v[20:21], -0.5, v[14:15]
	v_add_f64 v[54:55], v[52:53], v[54:55]
	v_fma_f64 v[14:15], v[16:17], s[14:15], v[20:21]
	v_fma_f64 v[16:17], v[16:17], s[16:17], v[20:21]
	v_add_f64 v[20:21], v[244:245], -v[248:249]
	v_fma_f64 v[14:15], v[24:25], s[18:19], v[14:15]
	v_fma_f64 v[16:17], v[24:25], s[6:7], v[16:17]
	v_add_f64 v[24:25], v[250:251], -v[238:239]
	v_add_f64 v[20:21], v[20:21], v[26:27]
	v_fma_f64 v[14:15], v[18:19], s[4:5], v[14:15]
	v_fma_f64 v[74:75], v[18:19], s[4:5], v[16:17]
	v_add_f64 v[16:17], v[240:241], v[244:245]
	v_add_f64 v[16:17], v[16:17], v[248:249]
	;; [unrolled: 1-line block ×5, first 2 shown]
	v_fma_f64 v[18:19], v[16:17], -0.5, v[240:241]
	v_fma_f64 v[16:17], v[22:23], s[14:15], v[18:19]
	v_fma_f64 v[18:19], v[22:23], s[16:17], v[18:19]
	;; [unrolled: 1-line block ×6, first 2 shown]
	v_add_f64 v[18:19], v[244:245], v[232:233]
	v_fma_f64 v[18:19], v[18:19], -0.5, v[240:241]
	v_fma_f64 v[26:27], v[24:25], s[16:17], v[18:19]
	v_fma_f64 v[18:19], v[24:25], s[14:15], v[18:19]
	v_add_f64 v[24:25], v[244:245], -v[232:233]
	v_add_f64 v[232:233], v[238:239], -v[234:235]
	v_fma_f64 v[26:27], v[22:23], s[6:7], v[26:27]
	v_fma_f64 v[18:19], v[22:23], s[18:19], v[18:19]
	v_add_f64 v[80:81], v[80:81], v[232:233]
	v_fma_f64 v[52:53], v[54:55], s[4:5], v[26:27]
	v_fma_f64 v[56:57], v[54:55], s[4:5], v[18:19]
	v_add_f64 v[18:19], v[242:243], v[246:247]
	v_add_f64 v[26:27], v[248:249], -v[236:237]
	v_add_f64 v[54:55], v[246:247], -v[250:251]
	v_add_f64 v[18:19], v[18:19], v[250:251]
	v_add_f64 v[54:55], v[54:55], v[58:59]
	;; [unrolled: 1-line block ×5, first 2 shown]
	v_fma_f64 v[22:23], v[18:19], -0.5, v[242:243]
	v_fma_f64 v[18:19], v[24:25], s[16:17], v[22:23]
	v_fma_f64 v[22:23], v[24:25], s[14:15], v[22:23]
	;; [unrolled: 1-line block ×6, first 2 shown]
	v_add_f64 v[54:55], v[246:247], v[234:235]
	v_fma_f64 v[58:59], v[54:55], -0.5, v[242:243]
	v_fma_f64 v[54:55], v[26:27], s[14:15], v[58:59]
	v_fma_f64 v[26:27], v[26:27], s[16:17], v[58:59]
	;; [unrolled: 1-line block ×6, first 2 shown]
	buffer_load_dword v24, off, s[28:31], 0 offset:252 ; 4-byte Folded Reload
	s_waitcnt vmcnt(0)
	ds_write_b128 v24, v[0:3]
	ds_write_b128 v24, v[8:11] offset:16
	ds_write_b128 v24, v[32:35] offset:32
	ds_write_b128 v24, v[28:31] offset:48
	ds_write_b128 v24, v[4:7] offset:64
	buffer_load_dword v0, off, s[28:31], 0 offset:256 ; 4-byte Folded Reload
	s_waitcnt vmcnt(0)
	ds_write_b128 v0, v[36:39]
	ds_write_b128 v0, v[44:47] offset:16
	ds_write_b128 v0, v[60:63] offset:32
	ds_write_b128 v0, v[48:51] offset:48
	ds_write_b128 v0, v[40:43] offset:64
	;; [unrolled: 7-line block ×3, first 2 shown]
	s_and_saveexec_b64 s[4:5], s[0:1]
	s_cbranch_execz .LBB0_21
; %bb.20:
	buffer_load_dword v0, off, s[28:31], 0  ; 4-byte Folded Reload
	buffer_load_dword v1, off, s[28:31], 0 offset:360 ; 4-byte Folded Reload
	s_waitcnt vmcnt(0)
	v_lshl_add_u32 v0, v1, 4, v0
	ds_write_b128 v0, v[252:255]
	ds_write_b128 v0, v[16:19] offset:16
	ds_write_b128 v0, v[52:55] offset:32
	;; [unrolled: 1-line block ×4, first 2 shown]
.LBB0_21:
	s_or_b64 exec, exec, s[4:5]
	s_waitcnt lgkmcnt(0)
	s_barrier
	ds_read_b128 v[24:27], v92
	ds_read_b128 v[12:15], v92 offset:1200
	ds_read_b128 v[60:63], v92 offset:7680
	;; [unrolled: 1-line block ×14, first 2 shown]
	s_and_saveexec_b64 s[4:5], s[0:1]
	s_cbranch_execz .LBB0_23
; %bb.22:
	ds_read_b128 v[252:255], v92 offset:3600
	ds_read_b128 v[16:19], v92 offset:7440
	;; [unrolled: 1-line block ×5, first 2 shown]
.LBB0_23:
	s_or_b64 exec, exec, s[4:5]
	buffer_load_dword v236, off, s[28:31], 0 offset:312 ; 4-byte Folded Reload
	buffer_load_dword v237, off, s[28:31], 0 offset:316 ; 4-byte Folded Reload
	;; [unrolled: 1-line block ×4, first 2 shown]
	s_mov_b32 s16, 0x134454ff
	s_mov_b32 s17, 0xbfee6f0e
	s_mov_b32 s15, 0x3fee6f0e
	s_mov_b32 s14, s16
	s_mov_b32 s18, 0x4755a5e
	s_mov_b32 s19, 0xbfe2cf23
	s_mov_b32 s7, 0x3fe2cf23
	s_mov_b32 s6, s18
	s_mov_b32 s4, 0x372fe950
	s_mov_b32 s5, 0x3fd3c6ef
	s_waitcnt vmcnt(0) lgkmcnt(8)
	v_mul_f64 v[72:73], v[238:239], v[186:187]
	v_fma_f64 v[188:189], v[236:237], v[184:185], v[72:73]
	v_mul_f64 v[72:73], v[238:239], v[184:185]
	v_fma_f64 v[186:187], v[236:237], v[186:187], -v[72:73]
	buffer_load_dword v236, off, s[28:31], 0 offset:296 ; 4-byte Folded Reload
	buffer_load_dword v237, off, s[28:31], 0 offset:300 ; 4-byte Folded Reload
	;; [unrolled: 1-line block ×4, first 2 shown]
	s_waitcnt vmcnt(0)
	v_mul_f64 v[72:73], v[238:239], v[62:63]
	v_fma_f64 v[190:191], v[236:237], v[60:61], v[72:73]
	buffer_load_dword v72, off, s[28:31], 0 offset:280 ; 4-byte Folded Reload
	buffer_load_dword v73, off, s[28:31], 0 offset:284 ; 4-byte Folded Reload
	;; [unrolled: 1-line block ×4, first 2 shown]
	v_mul_f64 v[60:61], v[238:239], v[60:61]
	v_fma_f64 v[236:237], v[236:237], v[62:63], -v[60:61]
	s_waitcnt vmcnt(0) lgkmcnt(4)
	v_mul_f64 v[60:61], v[74:75], v[66:67]
	v_fma_f64 v[238:239], v[72:73], v[64:65], v[60:61]
	v_mul_f64 v[60:61], v[74:75], v[64:65]
	buffer_load_dword v62, off, s[28:31], 0 offset:264 ; 4-byte Folded Reload
	buffer_load_dword v63, off, s[28:31], 0 offset:268 ; 4-byte Folded Reload
	;; [unrolled: 1-line block ×4, first 2 shown]
	v_fma_f64 v[240:241], v[72:73], v[66:67], -v[60:61]
	s_waitcnt vmcnt(0)
	v_mul_f64 v[60:61], v[64:65], v[50:51]
	v_fma_f64 v[242:243], v[62:63], v[48:49], v[60:61]
	v_mul_f64 v[48:49], v[64:65], v[48:49]
	v_fma_f64 v[244:245], v[62:63], v[50:51], -v[48:49]
	v_mul_f64 v[48:49], v[90:91], v[46:47]
	v_fma_f64 v[184:185], v[88:89], v[44:45], v[48:49]
	v_mul_f64 v[44:45], v[90:91], v[44:45]
	v_fma_f64 v[80:81], v[88:89], v[46:47], -v[44:45]
	;; [unrolled: 4-line block ×3, first 2 shown]
	s_waitcnt lgkmcnt(2)
	v_mul_f64 v[36:37], v[70:71], v[42:43]
	v_fma_f64 v[86:87], v[68:69], v[40:41], v[36:37]
	v_mul_f64 v[36:37], v[70:71], v[40:41]
	v_fma_f64 v[84:85], v[68:69], v[42:43], -v[36:37]
	v_mul_f64 v[36:37], v[78:79], v[34:35]
	v_fma_f64 v[90:91], v[76:77], v[32:33], v[36:37]
	v_mul_f64 v[32:33], v[78:79], v[32:33]
	v_add_f64 v[36:37], v[90:91], -v[86:87]
	v_fma_f64 v[78:79], v[76:77], v[34:35], -v[32:33]
	v_mul_f64 v[32:33], v[106:107], v[30:31]
	v_add_f64 v[34:35], v[38:39], -v[84:85]
	v_fma_f64 v[70:71], v[104:105], v[28:29], v[32:33]
	v_mul_f64 v[28:29], v[106:107], v[28:29]
	v_add_f64 v[32:33], v[184:185], -v[88:89]
	v_fma_f64 v[60:61], v[104:105], v[30:31], -v[28:29]
	v_mul_f64 v[28:29], v[102:103], v[10:11]
	v_add_f64 v[30:31], v[240:241], -v[244:245]
	v_add_f64 v[36:37], v[32:33], v[36:37]
	v_fma_f64 v[72:73], v[100:101], v[8:9], v[28:29]
	v_mul_f64 v[8:9], v[102:103], v[8:9]
	v_add_f64 v[28:29], v[244:245], -v[240:241]
	v_fma_f64 v[62:63], v[100:101], v[10:11], -v[8:9]
	s_waitcnt lgkmcnt(1)
	v_mul_f64 v[8:9], v[98:99], v[6:7]
	v_add_f64 v[10:11], v[236:237], -v[240:241]
	v_fma_f64 v[74:75], v[96:97], v[4:5], v[8:9]
	v_mul_f64 v[4:5], v[98:99], v[4:5]
	v_fma_f64 v[64:65], v[96:97], v[6:7], -v[4:5]
	buffer_load_dword v6, off, s[28:31], 0 offset:328 ; 4-byte Folded Reload
	buffer_load_dword v7, off, s[28:31], 0 offset:332 ; 4-byte Folded Reload
	;; [unrolled: 1-line block ×4, first 2 shown]
	s_waitcnt vmcnt(0) lgkmcnt(0)
	s_barrier
	v_mul_f64 v[4:5], v[8:9], v[2:3]
	v_fma_f64 v[76:77], v[6:7], v[0:1], v[4:5]
	v_mul_f64 v[0:1], v[8:9], v[0:1]
	v_add_f64 v[8:9], v[188:189], -v[190:191]
	v_fma_f64 v[66:67], v[6:7], v[2:3], -v[0:1]
	v_mul_f64 v[0:1], v[122:123], v[18:19]
	v_add_f64 v[2:3], v[190:191], v[238:239]
	v_add_f64 v[6:7], v[186:187], -v[244:245]
	v_fma_f64 v[46:47], v[120:121], v[16:17], v[0:1]
	v_mul_f64 v[0:1], v[122:123], v[16:17]
	v_fma_f64 v[2:3], v[2:3], -0.5, v[24:25]
	v_add_f64 v[16:17], v[242:243], -v[238:239]
	v_fma_f64 v[68:69], v[120:121], v[18:19], -v[0:1]
	v_mul_f64 v[0:1], v[118:119], v[54:55]
	v_fma_f64 v[4:5], v[6:7], s[16:17], v[2:3]
	v_fma_f64 v[2:3], v[6:7], s[14:15], v[2:3]
	v_add_f64 v[16:17], v[8:9], v[16:17]
	v_add_f64 v[18:19], v[190:191], -v[188:189]
	v_fma_f64 v[50:51], v[116:117], v[52:53], v[0:1]
	v_mul_f64 v[0:1], v[118:119], v[52:53]
	v_fma_f64 v[4:5], v[10:11], s[18:19], v[4:5]
	v_fma_f64 v[2:3], v[10:11], s[6:7], v[2:3]
	v_fma_f64 v[52:53], v[116:117], v[54:55], -v[0:1]
	v_mul_f64 v[0:1], v[114:115], v[58:59]
	v_fma_f64 v[8:9], v[16:17], s[4:5], v[4:5]
	v_fma_f64 v[4:5], v[16:17], s[4:5], v[2:3]
	v_add_f64 v[2:3], v[188:189], v[242:243]
	v_add_f64 v[54:55], v[86:87], -v[90:91]
	v_fma_f64 v[42:43], v[112:113], v[56:57], v[0:1]
	v_mul_f64 v[0:1], v[114:115], v[56:57]
	v_add_f64 v[56:57], v[88:89], -v[86:87]
	v_fma_f64 v[2:3], v[2:3], -0.5, v[24:25]
	v_fma_f64 v[48:49], v[112:113], v[58:59], -v[0:1]
	v_mul_f64 v[0:1], v[110:111], v[22:23]
	v_fma_f64 v[16:17], v[10:11], s[14:15], v[2:3]
	v_fma_f64 v[2:3], v[10:11], s[16:17], v[2:3]
	v_add_f64 v[58:59], v[80:81], -v[38:39]
	v_fma_f64 v[40:41], v[108:109], v[20:21], v[0:1]
	v_mul_f64 v[0:1], v[110:111], v[20:21]
	v_add_f64 v[20:21], v[238:239], -v[242:243]
	v_fma_f64 v[16:17], v[6:7], s[18:19], v[16:17]
	v_fma_f64 v[2:3], v[6:7], s[6:7], v[2:3]
	v_add_f64 v[6:7], v[236:237], v[240:241]
	v_fma_f64 v[44:45], v[108:109], v[22:23], -v[0:1]
	v_add_f64 v[18:19], v[18:19], v[20:21]
	v_add_f64 v[0:1], v[24:25], v[188:189]
	v_add_f64 v[24:25], v[190:191], -v[238:239]
	v_fma_f64 v[6:7], v[6:7], -0.5, v[26:27]
	v_add_f64 v[22:23], v[186:187], -v[236:237]
	v_fma_f64 v[20:21], v[18:19], s[4:5], v[16:17]
	v_fma_f64 v[16:17], v[18:19], s[4:5], v[2:3]
	v_add_f64 v[18:19], v[188:189], -v[242:243]
	v_add_f64 v[2:3], v[26:27], v[186:187]
	v_add_f64 v[22:23], v[22:23], v[28:29]
	v_add_f64 v[28:29], v[236:237], -v[186:187]
	v_add_f64 v[0:1], v[0:1], v[190:191]
	v_fma_f64 v[10:11], v[18:19], s[14:15], v[6:7]
	v_fma_f64 v[6:7], v[18:19], s[16:17], v[6:7]
	v_add_f64 v[2:3], v[2:3], v[236:237]
	v_add_f64 v[28:29], v[28:29], v[30:31]
	v_add_f64 v[30:31], v[80:81], -v[78:79]
	v_add_f64 v[0:1], v[0:1], v[238:239]
	v_fma_f64 v[10:11], v[24:25], s[6:7], v[10:11]
	v_fma_f64 v[6:7], v[24:25], s[18:19], v[6:7]
	v_add_f64 v[2:3], v[2:3], v[240:241]
	v_add_f64 v[0:1], v[0:1], v[242:243]
	v_fma_f64 v[10:11], v[22:23], s[4:5], v[10:11]
	v_fma_f64 v[6:7], v[22:23], s[4:5], v[6:7]
	v_add_f64 v[22:23], v[186:187], v[244:245]
	v_add_f64 v[2:3], v[2:3], v[244:245]
	v_fma_f64 v[26:27], v[22:23], -0.5, v[26:27]
	v_fma_f64 v[22:23], v[24:25], s[16:17], v[26:27]
	v_fma_f64 v[24:25], v[24:25], s[14:15], v[26:27]
	v_add_f64 v[26:27], v[88:89], v[86:87]
	v_fma_f64 v[22:23], v[18:19], s[6:7], v[22:23]
	v_fma_f64 v[18:19], v[18:19], s[18:19], v[24:25]
	v_fma_f64 v[26:27], v[26:27], -0.5, v[12:13]
	v_add_f64 v[24:25], v[12:13], v[184:185]
	v_fma_f64 v[22:23], v[28:29], s[4:5], v[22:23]
	v_fma_f64 v[18:19], v[28:29], s[4:5], v[18:19]
	;; [unrolled: 1-line block ×4, first 2 shown]
	v_add_f64 v[24:25], v[24:25], v[88:89]
	v_fma_f64 v[28:29], v[34:35], s[18:19], v[28:29]
	v_fma_f64 v[26:27], v[34:35], s[6:7], v[26:27]
	v_add_f64 v[24:25], v[24:25], v[86:87]
	v_add_f64 v[86:87], v[78:79], -v[84:85]
	v_fma_f64 v[32:33], v[36:37], s[4:5], v[28:29]
	v_fma_f64 v[28:29], v[36:37], s[4:5], v[26:27]
	v_add_f64 v[26:27], v[184:185], v[90:91]
	v_add_f64 v[36:37], v[88:89], -v[184:185]
	v_add_f64 v[58:59], v[58:59], v[86:87]
	v_add_f64 v[24:25], v[24:25], v[90:91]
	v_add_f64 v[88:89], v[52:53], -v[68:69]
	v_fma_f64 v[12:13], v[26:27], -0.5, v[12:13]
	v_add_f64 v[54:55], v[36:37], v[54:55]
	v_fma_f64 v[26:27], v[34:35], s[14:15], v[12:13]
	v_fma_f64 v[12:13], v[34:35], s[16:17], v[12:13]
	;; [unrolled: 1-line block ×4, first 2 shown]
	v_add_f64 v[30:31], v[38:39], v[84:85]
	v_fma_f64 v[36:37], v[54:55], s[4:5], v[26:27]
	v_fma_f64 v[12:13], v[54:55], s[4:5], v[12:13]
	v_fma_f64 v[30:31], v[30:31], -0.5, v[14:15]
	v_add_f64 v[54:55], v[184:185], -v[90:91]
	v_add_f64 v[26:27], v[14:15], v[80:81]
	v_add_f64 v[90:91], v[48:49], -v[44:45]
	v_fma_f64 v[34:35], v[54:55], s[14:15], v[30:31]
	v_fma_f64 v[30:31], v[54:55], s[16:17], v[30:31]
	v_add_f64 v[26:27], v[26:27], v[38:39]
	v_add_f64 v[38:39], v[38:39], -v[80:81]
	v_add_f64 v[88:89], v[88:89], v[90:91]
	buffer_load_dword v90, off, s[28:31], 0 offset:348 ; 4-byte Folded Reload
	s_waitcnt vmcnt(0)
	ds_write_b128 v90, v[0:3]
	ds_write_b128 v90, v[8:11] offset:80
	ds_write_b128 v90, v[20:23] offset:160
	ds_write_b128 v90, v[16:19] offset:240
	ds_write_b128 v90, v[4:7] offset:320
	v_fma_f64 v[34:35], v[56:57], s[6:7], v[34:35]
	v_fma_f64 v[30:31], v[56:57], s[18:19], v[30:31]
	v_add_f64 v[26:27], v[26:27], v[84:85]
	buffer_load_dword v0, off, s[28:31], 0 offset:352 ; 4-byte Folded Reload
	v_fma_f64 v[34:35], v[58:59], s[4:5], v[34:35]
	v_fma_f64 v[30:31], v[58:59], s[4:5], v[30:31]
	v_add_f64 v[58:59], v[80:81], v[78:79]
	v_add_f64 v[26:27], v[26:27], v[78:79]
	v_add_f64 v[78:79], v[84:85], -v[78:79]
	v_add_f64 v[80:81], v[70:71], -v[72:73]
	;; [unrolled: 1-line block ×3, first 2 shown]
	v_fma_f64 v[14:15], v[58:59], -0.5, v[14:15]
	v_add_f64 v[78:79], v[38:39], v[78:79]
	v_add_f64 v[80:81], v[80:81], v[84:85]
	v_add_f64 v[84:85], v[74:75], -v[76:77]
	v_fma_f64 v[58:59], v[56:57], s[16:17], v[14:15]
	v_fma_f64 v[14:15], v[56:57], s[14:15], v[14:15]
	v_add_f64 v[56:57], v[60:61], -v[66:67]
	v_fma_f64 v[58:59], v[54:55], s[6:7], v[58:59]
	v_fma_f64 v[14:15], v[54:55], s[18:19], v[14:15]
	v_add_f64 v[54:55], v[232:233], v[70:71]
	v_fma_f64 v[38:39], v[78:79], s[4:5], v[58:59]
	v_fma_f64 v[14:15], v[78:79], s[4:5], v[14:15]
	v_add_f64 v[54:55], v[54:55], v[72:73]
	v_add_f64 v[78:79], v[62:63], -v[64:65]
	s_waitcnt vmcnt(0)
	ds_write_b128 v0, v[24:27]
	ds_write_b128 v0, v[32:35] offset:80
	ds_write_b128 v0, v[36:39] offset:160
	;; [unrolled: 1-line block ×4, first 2 shown]
	v_add_f64 v[54:55], v[54:55], v[74:75]
	buffer_load_dword v0, off, s[28:31], 0 offset:356 ; 4-byte Folded Reload
	v_add_f64 v[96:97], v[54:55], v[76:77]
	v_add_f64 v[54:55], v[72:73], v[74:75]
	v_fma_f64 v[54:55], v[54:55], -0.5, v[232:233]
	v_fma_f64 v[58:59], v[56:57], s[16:17], v[54:55]
	v_fma_f64 v[54:55], v[56:57], s[14:15], v[54:55]
	;; [unrolled: 1-line block ×6, first 2 shown]
	v_add_f64 v[54:55], v[70:71], v[76:77]
	v_add_f64 v[80:81], v[72:73], -v[70:71]
	v_fma_f64 v[54:55], v[54:55], -0.5, v[232:233]
	v_add_f64 v[80:81], v[80:81], v[84:85]
	v_add_f64 v[84:85], v[50:51], -v[42:43]
	v_fma_f64 v[58:59], v[78:79], s[14:15], v[54:55]
	v_fma_f64 v[54:55], v[78:79], s[16:17], v[54:55]
	v_add_f64 v[78:79], v[44:45], -v[48:49]
	v_fma_f64 v[58:59], v[56:57], s[18:19], v[58:59]
	v_fma_f64 v[54:55], v[56:57], s[6:7], v[54:55]
	v_add_f64 v[56:57], v[70:71], -v[76:77]
	v_add_f64 v[70:71], v[72:73], -v[74:75]
	;; [unrolled: 1-line block ×4, first 2 shown]
	v_fma_f64 v[108:109], v[80:81], s[4:5], v[58:59]
	v_fma_f64 v[112:113], v[80:81], s[4:5], v[54:55]
	v_add_f64 v[54:55], v[234:235], v[60:61]
	v_add_f64 v[80:81], v[46:47], -v[40:41]
	v_add_f64 v[72:73], v[72:73], v[74:75]
	v_add_f64 v[54:55], v[54:55], v[62:63]
	;; [unrolled: 1-line block ×5, first 2 shown]
	v_fma_f64 v[54:55], v[54:55], -0.5, v[234:235]
	v_fma_f64 v[58:59], v[56:57], s[14:15], v[54:55]
	v_fma_f64 v[54:55], v[56:57], s[16:17], v[54:55]
	;; [unrolled: 1-line block ×6, first 2 shown]
	v_add_f64 v[54:55], v[60:61], v[66:67]
	v_add_f64 v[60:61], v[62:63], -v[60:61]
	v_add_f64 v[62:63], v[64:65], -v[66:67]
	;; [unrolled: 1-line block ×5, first 2 shown]
	v_fma_f64 v[54:55], v[54:55], -0.5, v[234:235]
	v_add_f64 v[60:61], v[60:61], v[62:63]
	v_add_f64 v[62:63], v[40:41], -v[42:43]
	v_fma_f64 v[58:59], v[70:71], s[16:17], v[54:55]
	v_fma_f64 v[54:55], v[70:71], s[14:15], v[54:55]
	v_add_f64 v[70:71], v[64:65], v[66:67]
	v_add_f64 v[66:67], v[68:69], -v[52:53]
	v_fma_f64 v[58:59], v[56:57], s[6:7], v[58:59]
	v_fma_f64 v[54:55], v[56:57], s[18:19], v[54:55]
	v_add_f64 v[56:57], v[68:69], -v[44:45]
	v_add_f64 v[78:79], v[66:67], v[78:79]
	v_add_f64 v[66:67], v[68:69], v[44:45]
	v_fma_f64 v[110:111], v[60:61], s[4:5], v[58:59]
	v_fma_f64 v[114:115], v[60:61], s[4:5], v[54:55]
	v_add_f64 v[54:55], v[50:51], v[42:43]
	v_add_f64 v[60:61], v[46:47], -v[50:51]
	v_fma_f64 v[86:87], v[66:67], -0.5, v[254:255]
	s_waitcnt vmcnt(0)
	ds_write_b128 v0, v[96:99]
	ds_write_b128 v0, v[100:103] offset:80
	ds_write_b128 v0, v[108:111] offset:160
	;; [unrolled: 1-line block ×4, first 2 shown]
	v_fma_f64 v[54:55], v[54:55], -0.5, v[252:253]
	v_add_f64 v[76:77], v[60:61], v[62:63]
	v_fma_f64 v[66:67], v[84:85], s[16:17], v[86:87]
	v_fma_f64 v[58:59], v[56:57], s[16:17], v[54:55]
	;; [unrolled: 1-line block ×6, first 2 shown]
	v_add_f64 v[58:59], v[46:47], v[40:41]
	v_fma_f64 v[58:59], v[58:59], -0.5, v[252:253]
	v_fma_f64 v[62:63], v[72:73], s[14:15], v[58:59]
	v_fma_f64 v[62:63], v[56:57], s[18:19], v[62:63]
	;; [unrolled: 1-line block ×3, first 2 shown]
	v_add_f64 v[62:63], v[52:53], v[48:49]
	v_fma_f64 v[74:75], v[62:63], -0.5, v[254:255]
	v_fma_f64 v[62:63], v[80:81], s[14:15], v[74:75]
	v_fma_f64 v[62:63], v[84:85], s[6:7], v[62:63]
	;; [unrolled: 1-line block ×3, first 2 shown]
	s_and_saveexec_b64 s[16:17], s[0:1]
	s_cbranch_execz .LBB0_25
; %bb.24:
	v_add_f64 v[6:7], v[254:255], v[68:69]
	v_mul_f64 v[12:13], v[84:85], s[14:15]
	v_mul_f64 v[0:1], v[56:57], s[14:15]
	;; [unrolled: 1-line block ×7, first 2 shown]
	v_add_f64 v[6:7], v[6:7], v[52:53]
	v_add_f64 v[12:13], v[12:13], v[86:87]
	;; [unrolled: 1-line block ×3, first 2 shown]
	v_add_f64 v[4:5], v[58:59], -v[4:5]
	v_add_f64 v[10:11], v[252:253], v[46:47]
	v_mul_f64 v[14:15], v[80:81], s[14:15]
	v_mul_f64 v[20:21], v[84:85], s[6:7]
	;; [unrolled: 1-line block ×3, first 2 shown]
	v_add_f64 v[6:7], v[6:7], v[48:49]
	v_add_f64 v[12:13], v[12:13], -v[22:23]
	v_mul_f64 v[8:9], v[76:77], s[4:5]
	v_add_f64 v[4:5], v[16:17], v[4:5]
	v_add_f64 v[16:17], v[2:3], v[0:1]
	;; [unrolled: 1-line block ×3, first 2 shown]
	v_add_f64 v[14:15], v[74:75], -v[14:15]
	v_mul_f64 v[24:25], v[78:79], s[4:5]
	v_add_f64 v[2:3], v[6:7], v[44:45]
	v_add_f64 v[6:7], v[26:27], v[12:13]
	buffer_load_dword v12, off, s[28:31], 0 ; 4-byte Folded Reload
	buffer_load_dword v13, off, s[28:31], 0 offset:344 ; 4-byte Folded Reload
	v_add_f64 v[4:5], v[18:19], v[4:5]
	v_add_f64 v[8:9], v[8:9], v[16:17]
	;; [unrolled: 1-line block ×3, first 2 shown]
	v_add_f64 v[14:15], v[14:15], -v[20:21]
	v_add_f64 v[0:1], v[10:11], v[40:41]
	v_add_f64 v[10:11], v[24:25], v[14:15]
	s_waitcnt vmcnt(0)
	v_lshl_add_u32 v12, v13, 4, v12
	ds_write_b128 v12, v[0:3]
	ds_write_b128 v12, v[60:63] offset:80
	ds_write_b128 v12, v[64:67] offset:160
	;; [unrolled: 1-line block ×4, first 2 shown]
.LBB0_25:
	s_or_b64 exec, exec, s[16:17]
	s_waitcnt lgkmcnt(0)
	s_barrier
	ds_read_b128 v[0:3], v92
	ds_read_b128 v[4:7], v92 offset:1200
	ds_read_b128 v[8:11], v92 offset:2400
	;; [unrolled: 1-line block ×13, first 2 shown]
	s_waitcnt lgkmcnt(12)
	v_mul_f64 v[72:73], v[150:151], v[6:7]
	v_mul_f64 v[74:75], v[150:151], v[4:5]
	s_waitcnt lgkmcnt(10)
	v_mul_f64 v[80:81], v[130:131], v[14:15]
	v_mul_f64 v[84:85], v[130:131], v[12:13]
	;; [unrolled: 1-line block ×4, first 2 shown]
	ds_read_b128 v[56:59], v92 offset:16800
	ds_read_b128 v[68:71], v92 offset:18000
	s_waitcnt lgkmcnt(8)
	v_mul_f64 v[86:87], v[142:143], v[30:31]
	v_fma_f64 v[4:5], v[148:149], v[4:5], v[72:73]
	v_fma_f64 v[6:7], v[148:149], v[6:7], -v[74:75]
	v_fma_f64 v[12:13], v[128:129], v[12:13], v[80:81]
	v_fma_f64 v[14:15], v[128:129], v[14:15], -v[84:85]
	v_mul_f64 v[72:73], v[126:127], v[18:19]
	v_mul_f64 v[74:75], v[126:127], v[16:17]
	;; [unrolled: 1-line block ×4, first 2 shown]
	v_fma_f64 v[8:9], v[132:133], v[8:9], v[76:77]
	v_fma_f64 v[10:11], v[132:133], v[10:11], -v[78:79]
	v_mul_f64 v[76:77], v[166:167], v[22:23]
	v_mul_f64 v[78:79], v[166:167], v[20:21]
	v_fma_f64 v[16:17], v[124:125], v[16:17], v[72:73]
	v_fma_f64 v[18:19], v[124:125], v[18:19], -v[74:75]
	v_fma_f64 v[24:25], v[144:145], v[24:25], v[80:81]
	v_fma_f64 v[26:27], v[144:145], v[26:27], -v[84:85]
	s_waitcnt lgkmcnt(7)
	v_mul_f64 v[72:73], v[138:139], v[34:35]
	v_mul_f64 v[74:75], v[138:139], v[32:33]
	s_waitcnt lgkmcnt(5)
	v_mul_f64 v[80:81], v[162:163], v[42:43]
	v_mul_f64 v[84:85], v[162:163], v[40:41]
	;; [unrolled: 1-line block ×3, first 2 shown]
	v_fma_f64 v[20:21], v[164:165], v[20:21], v[76:77]
	v_fma_f64 v[22:23], v[164:165], v[22:23], -v[78:79]
	v_fma_f64 v[28:29], v[140:141], v[28:29], v[86:87]
	v_fma_f64 v[32:33], v[136:137], v[32:33], v[72:73]
	v_fma_f64 v[34:35], v[136:137], v[34:35], -v[74:75]
	v_fma_f64 v[40:41], v[160:161], v[40:41], v[80:81]
	v_fma_f64 v[42:43], v[160:161], v[42:43], -v[84:85]
	s_waitcnt lgkmcnt(3)
	v_mul_f64 v[72:73], v[154:155], v[50:51]
	v_mul_f64 v[74:75], v[154:155], v[48:49]
	s_waitcnt lgkmcnt(1)
	v_mul_f64 v[80:81], v[174:175], v[58:59]
	v_mul_f64 v[84:85], v[174:175], v[56:57]
	v_fma_f64 v[30:31], v[140:141], v[30:31], -v[88:89]
	v_mul_f64 v[76:77], v[178:179], v[38:39]
	v_mul_f64 v[78:79], v[178:179], v[36:37]
	v_mul_f64 v[86:87], v[158:159], v[46:47]
	v_mul_f64 v[88:89], v[158:159], v[44:45]
	v_fma_f64 v[48:49], v[152:153], v[48:49], v[72:73]
	v_fma_f64 v[50:51], v[152:153], v[50:51], -v[74:75]
	v_fma_f64 v[56:57], v[172:173], v[56:57], v[80:81]
	v_fma_f64 v[58:59], v[172:173], v[58:59], -v[84:85]
	;; [unrolled: 2-line block ×4, first 2 shown]
	v_mul_f64 v[76:77], v[182:183], v[54:55]
	v_mul_f64 v[78:79], v[182:183], v[52:53]
	s_waitcnt lgkmcnt(0)
	v_mul_f64 v[86:87], v[170:171], v[70:71]
	v_mul_f64 v[88:89], v[170:171], v[68:69]
	v_add_f64 v[32:33], v[0:1], -v[32:33]
	v_add_f64 v[34:35], v[2:3], -v[34:35]
	;; [unrolled: 1-line block ×8, first 2 shown]
	v_fma_f64 v[52:53], v[180:181], v[52:53], v[76:77]
	v_fma_f64 v[54:55], v[180:181], v[54:55], -v[78:79]
	v_fma_f64 v[68:69], v[168:169], v[68:69], v[86:87]
	v_fma_f64 v[70:71], v[168:169], v[70:71], -v[88:89]
	v_fma_f64 v[0:1], v[0:1], 2.0, -v[32:33]
	v_fma_f64 v[2:3], v[2:3], 2.0, -v[34:35]
	;; [unrolled: 1-line block ×8, first 2 shown]
	v_add_f64 v[50:51], v[32:33], v[50:51]
	v_add_f64 v[48:49], v[34:35], -v[48:49]
	v_add_f64 v[58:59], v[40:41], v[58:59]
	v_add_f64 v[56:57], v[42:43], -v[56:57]
	v_add_f64 v[36:37], v[4:5], -v[36:37]
	;; [unrolled: 1-line block ×13, first 2 shown]
	v_fma_f64 v[32:33], v[32:33], 2.0, -v[50:51]
	v_fma_f64 v[34:35], v[34:35], 2.0, -v[48:49]
	;; [unrolled: 1-line block ×4, first 2 shown]
	s_mov_b32 s4, 0x667f3bcd
	s_mov_b32 s5, 0xbfe6a09e
	v_fma_f64 v[4:5], v[4:5], 2.0, -v[36:37]
	v_fma_f64 v[6:7], v[6:7], 2.0, -v[38:39]
	;; [unrolled: 1-line block ×12, first 2 shown]
	v_add_f64 v[54:55], v[36:37], v[54:55]
	v_add_f64 v[52:53], v[38:39], -v[52:53]
	v_add_f64 v[70:71], v[44:45], v[70:71]
	v_add_f64 v[68:69], v[46:47], -v[68:69]
	v_fma_f64 v[72:73], v[40:41], s[4:5], v[32:33]
	v_fma_f64 v[74:75], v[42:43], s[4:5], v[34:35]
	s_mov_b32 s7, 0x3fe6a09e
	s_mov_b32 s6, s4
	v_add_f64 v[20:21], v[4:5], -v[20:21]
	v_add_f64 v[22:23], v[6:7], -v[22:23]
	;; [unrolled: 1-line block ×4, first 2 shown]
	v_fma_f64 v[36:37], v[36:37], 2.0, -v[54:55]
	v_fma_f64 v[38:39], v[38:39], 2.0, -v[52:53]
	;; [unrolled: 1-line block ×4, first 2 shown]
	v_add_f64 v[76:77], v[0:1], -v[8:9]
	v_add_f64 v[78:79], v[2:3], -v[10:11]
	v_fma_f64 v[8:9], v[58:59], s[6:7], v[50:51]
	v_fma_f64 v[10:11], v[56:57], s[6:7], v[48:49]
	;; [unrolled: 1-line block ×4, first 2 shown]
	v_add_f64 v[80:81], v[16:17], v[26:27]
	v_add_f64 v[84:85], v[18:19], -v[24:25]
	v_fma_f64 v[4:5], v[4:5], 2.0, -v[20:21]
	v_fma_f64 v[6:7], v[6:7], 2.0, -v[22:23]
	;; [unrolled: 1-line block ×4, first 2 shown]
	v_fma_f64 v[86:87], v[56:57], s[6:7], v[8:9]
	v_fma_f64 v[88:89], v[58:59], s[4:5], v[10:11]
	v_fma_f64 v[24:25], v[32:33], 2.0, -v[72:73]
	v_fma_f64 v[26:27], v[34:35], 2.0, -v[74:75]
	;; [unrolled: 1-line block ×4, first 2 shown]
	v_fma_f64 v[8:9], v[44:45], s[4:5], v[36:37]
	v_fma_f64 v[10:11], v[46:47], s[4:5], v[38:39]
	;; [unrolled: 1-line block ×4, first 2 shown]
	v_fma_f64 v[40:41], v[50:51], 2.0, -v[86:87]
	v_fma_f64 v[42:43], v[48:49], 2.0, -v[88:89]
	v_add_f64 v[48:49], v[4:5], -v[12:13]
	v_add_f64 v[50:51], v[6:7], -v[14:15]
	v_fma_f64 v[46:47], v[46:47], s[6:7], v[8:9]
	v_fma_f64 v[44:45], v[44:45], s[4:5], v[10:11]
	v_add_f64 v[56:57], v[20:21], v[30:31]
	v_add_f64 v[58:59], v[22:23], -v[28:29]
	v_fma_f64 v[68:69], v[68:69], s[6:7], v[16:17]
	v_fma_f64 v[70:71], v[70:71], s[4:5], v[18:19]
	v_fma_f64 v[0:1], v[0:1], 2.0, -v[76:77]
	v_fma_f64 v[2:3], v[2:3], 2.0, -v[78:79]
	;; [unrolled: 1-line block ×10, first 2 shown]
	s_mov_b32 s14, 0xcf328d46
	s_mov_b32 s16, 0xa6aea964
	;; [unrolled: 1-line block ×6, first 2 shown]
	v_add_f64 v[4:5], v[0:1], -v[4:5]
	v_add_f64 v[6:7], v[2:3], -v[6:7]
	v_fma_f64 v[20:21], v[10:11], s[14:15], v[24:25]
	v_fma_f64 v[22:23], v[8:9], s[14:15], v[26:27]
	;; [unrolled: 1-line block ×6, first 2 shown]
	s_mov_b32 s21, 0x3fed906b
	s_mov_b32 s20, s14
	v_fma_f64 v[8:9], v[8:9], s[16:17], v[20:21]
	v_fma_f64 v[10:11], v[10:11], s[18:19], v[22:23]
	v_fma_f64 v[12:13], v[12:13], s[6:7], v[28:29]
	v_fma_f64 v[14:15], v[14:15], s[4:5], v[30:31]
	v_fma_f64 v[16:17], v[16:17], s[20:21], v[36:37]
	v_fma_f64 v[18:19], v[18:19], s[14:15], v[38:39]
	v_fma_f64 v[20:21], v[0:1], 2.0, -v[4:5]
	v_fma_f64 v[22:23], v[2:3], 2.0, -v[6:7]
	v_fma_f64 v[0:1], v[46:47], s[16:17], v[72:73]
	v_fma_f64 v[2:3], v[44:45], s[16:17], v[74:75]
	;; [unrolled: 1-line block ×6, first 2 shown]
	v_add_f64 v[36:37], v[76:77], v[50:51]
	v_add_f64 v[38:39], v[78:79], -v[48:49]
	v_fma_f64 v[28:29], v[32:33], 2.0, -v[12:13]
	v_fma_f64 v[30:31], v[34:35], 2.0, -v[14:15]
	;; [unrolled: 1-line block ×4, first 2 shown]
	v_fma_f64 v[40:41], v[44:45], s[20:21], v[0:1]
	v_fma_f64 v[42:43], v[46:47], s[14:15], v[2:3]
	;; [unrolled: 1-line block ×6, first 2 shown]
	v_fma_f64 v[24:25], v[24:25], 2.0, -v[8:9]
	v_fma_f64 v[26:27], v[26:27], 2.0, -v[10:11]
	;; [unrolled: 1-line block ×10, first 2 shown]
	s_barrier
	ds_write_b128 v94, v[20:23]
	ds_write_b128 v94, v[24:27] offset:400
	ds_write_b128 v94, v[28:31] offset:800
	;; [unrolled: 1-line block ×15, first 2 shown]
	s_waitcnt lgkmcnt(0)
	s_barrier
	ds_read_b128 v[20:23], v92
	ds_read_b128 v[16:19], v92 offset:1200
	ds_read_b128 v[56:59], v92 offset:12800
	;; [unrolled: 1-line block ×14, first 2 shown]
	v_add_u32_e32 v74, 0x960, v92
	v_add_u32_e32 v73, 0xe10, v92
	;; [unrolled: 1-line block ×3, first 2 shown]
	s_and_saveexec_b64 s[4:5], s[2:3]
	s_cbranch_execz .LBB0_27
; %bb.26:
	ds_read_b128 v[0:3], v92 offset:6000
	ds_read_b128 v[60:63], v92 offset:12400
	ds_read_b128 v[64:67], v92 offset:18800
.LBB0_27:
	s_or_b64 exec, exec, s[4:5]
	s_waitcnt lgkmcnt(4)
	v_mul_f64 v[75:76], v[194:195], v[70:71]
	v_mul_f64 v[77:78], v[194:195], v[68:69]
	v_mul_f64 v[79:80], v[198:199], v[58:59]
	v_mul_f64 v[84:85], v[198:199], v[56:57]
	v_mul_f64 v[86:87], v[206:207], v[54:55]
	v_mul_f64 v[88:89], v[206:207], v[52:53]
	v_mul_f64 v[90:91], v[202:203], v[46:47]
	s_mov_b32 s4, 0xe8584caa
	v_fma_f64 v[68:69], v[192:193], v[68:69], v[75:76]
	v_fma_f64 v[70:71], v[192:193], v[70:71], -v[77:78]
	v_mul_f64 v[75:76], v[202:203], v[44:45]
	v_mul_f64 v[77:78], v[210:211], v[38:39]
	v_fma_f64 v[56:57], v[196:197], v[56:57], v[79:80]
	v_fma_f64 v[58:59], v[196:197], v[58:59], -v[84:85]
	v_fma_f64 v[52:53], v[204:205], v[52:53], v[86:87]
	v_fma_f64 v[54:55], v[204:205], v[54:55], -v[88:89]
	v_mul_f64 v[79:80], v[210:211], v[36:37]
	v_mul_f64 v[84:85], v[214:215], v[42:43]
	;; [unrolled: 1-line block ×3, first 2 shown]
	s_waitcnt lgkmcnt(2)
	v_mul_f64 v[88:89], v[222:223], v[50:51]
	v_fma_f64 v[46:47], v[200:201], v[46:47], -v[75:76]
	v_mul_f64 v[75:76], v[222:223], v[48:49]
	v_fma_f64 v[77:78], v[208:209], v[36:37], v[77:78]
	v_mul_f64 v[36:37], v[218:219], v[34:35]
	v_fma_f64 v[44:45], v[200:201], v[44:45], v[90:91]
	v_fma_f64 v[79:80], v[208:209], v[38:39], -v[79:80]
	v_fma_f64 v[40:41], v[212:213], v[40:41], v[84:85]
	v_fma_f64 v[42:43], v[212:213], v[42:43], -v[86:87]
	v_fma_f64 v[84:85], v[220:221], v[48:49], v[88:89]
	v_mul_f64 v[38:39], v[218:219], v[32:33]
	v_fma_f64 v[50:51], v[220:221], v[50:51], -v[75:76]
	s_waitcnt lgkmcnt(1)
	v_mul_f64 v[48:49], v[226:227], v[30:31]
	v_add_f64 v[75:76], v[68:69], v[56:57]
	v_fma_f64 v[86:87], v[216:217], v[32:33], v[36:37]
	v_mul_f64 v[32:33], v[226:227], v[28:29]
	s_waitcnt lgkmcnt(0)
	v_mul_f64 v[88:89], v[230:231], v[24:25]
	v_mul_f64 v[36:37], v[230:231], v[26:27]
	v_fma_f64 v[90:91], v[216:217], v[34:35], -v[38:39]
	v_add_f64 v[34:35], v[20:21], v[68:69]
	v_fma_f64 v[96:97], v[224:225], v[28:29], v[48:49]
	v_fma_f64 v[28:29], v[75:76], -0.5, v[20:21]
	v_add_f64 v[38:39], v[70:71], -v[58:59]
	v_fma_f64 v[75:76], v[224:225], v[30:31], -v[32:33]
	v_fma_f64 v[88:89], v[228:229], v[26:27], -v[88:89]
	v_add_f64 v[26:27], v[70:71], v[58:59]
	v_add_f64 v[30:31], v[22:23], v[70:71]
	;; [unrolled: 1-line block ×3, first 2 shown]
	s_mov_b32 s5, 0xbfebb67a
	s_mov_b32 s7, 0x3febb67a
	;; [unrolled: 1-line block ×3, first 2 shown]
	v_fma_f64 v[98:99], v[228:229], v[24:25], v[36:37]
	v_add_f64 v[20:21], v[34:35], v[56:57]
	v_fma_f64 v[24:25], v[38:39], s[4:5], v[28:29]
	v_fma_f64 v[34:35], v[26:27], -0.5, v[22:23]
	v_add_f64 v[36:37], v[68:69], -v[56:57]
	v_fma_f64 v[28:29], v[38:39], s[6:7], v[28:29]
	v_add_f64 v[38:39], v[16:17], v[52:53]
	v_add_f64 v[22:23], v[30:31], v[58:59]
	;; [unrolled: 1-line block ×3, first 2 shown]
	v_fma_f64 v[56:57], v[32:33], -0.5, v[16:17]
	v_add_f64 v[58:59], v[54:55], -v[46:47]
	v_add_f64 v[54:55], v[18:19], v[54:55]
	v_fma_f64 v[26:27], v[36:37], s[6:7], v[34:35]
	v_fma_f64 v[30:31], v[36:37], s[4:5], v[34:35]
	v_add_f64 v[16:17], v[38:39], v[44:45]
	v_add_f64 v[34:35], v[77:78], v[40:41]
	v_fma_f64 v[38:39], v[48:49], -0.5, v[18:19]
	v_add_f64 v[48:49], v[12:13], v[77:78]
	v_fma_f64 v[32:33], v[58:59], s[4:5], v[56:57]
	v_fma_f64 v[36:37], v[58:59], s[6:7], v[56:57]
	v_add_f64 v[56:57], v[84:85], v[86:87]
	v_add_f64 v[44:45], v[52:53], -v[44:45]
	v_add_f64 v[18:19], v[54:55], v[46:47]
	v_add_f64 v[46:47], v[79:80], v[42:43]
	v_fma_f64 v[52:53], v[34:35], -0.5, v[12:13]
	v_add_f64 v[54:55], v[79:80], -v[42:43]
	v_add_f64 v[58:59], v[14:15], v[79:80]
	v_add_f64 v[12:13], v[48:49], v[40:41]
	;; [unrolled: 1-line block ×3, first 2 shown]
	v_fma_f64 v[56:57], v[56:57], -0.5, v[8:9]
	v_add_f64 v[70:71], v[50:51], -v[90:91]
	v_fma_f64 v[34:35], v[44:45], s[6:7], v[38:39]
	v_fma_f64 v[38:39], v[44:45], s[4:5], v[38:39]
	v_fma_f64 v[46:47], v[46:47], -0.5, v[14:15]
	v_add_f64 v[68:69], v[77:78], -v[40:41]
	v_fma_f64 v[40:41], v[54:55], s[4:5], v[52:53]
	v_fma_f64 v[44:45], v[54:55], s[6:7], v[52:53]
	v_add_f64 v[14:15], v[58:59], v[42:43]
	v_add_f64 v[54:55], v[50:51], v[90:91]
	;; [unrolled: 1-line block ×4, first 2 shown]
	v_fma_f64 v[48:49], v[70:71], s[4:5], v[56:57]
	v_fma_f64 v[52:53], v[70:71], s[6:7], v[56:57]
	v_add_f64 v[56:57], v[75:76], v[88:89]
	v_fma_f64 v[42:43], v[68:69], s[6:7], v[46:47]
	v_fma_f64 v[46:47], v[68:69], s[4:5], v[46:47]
	v_add_f64 v[50:51], v[10:11], v[50:51]
	v_fma_f64 v[54:55], v[54:55], -0.5, v[10:11]
	v_add_f64 v[68:69], v[84:85], -v[86:87]
	v_add_f64 v[70:71], v[4:5], v[96:97]
	v_fma_f64 v[58:59], v[58:59], -0.5, v[4:5]
	v_add_f64 v[77:78], v[75:76], -v[88:89]
	v_add_f64 v[75:76], v[6:7], v[75:76]
	v_fma_f64 v[79:80], v[56:57], -0.5, v[6:7]
	v_add_f64 v[84:85], v[96:97], -v[98:99]
	v_add_f64 v[10:11], v[50:51], v[90:91]
	v_fma_f64 v[50:51], v[68:69], s[6:7], v[54:55]
	v_fma_f64 v[54:55], v[68:69], s[4:5], v[54:55]
	v_add_f64 v[4:5], v[70:71], v[98:99]
	v_fma_f64 v[56:57], v[77:78], s[4:5], v[58:59]
	v_fma_f64 v[68:69], v[77:78], s[6:7], v[58:59]
	;; [unrolled: 3-line block ×3, first 2 shown]
	ds_write_b128 v92, v[20:23]
	ds_write_b128 v95, v[24:27] offset:6400
	ds_write_b128 v95, v[28:31] offset:12800
	;; [unrolled: 1-line block ×14, first 2 shown]
	s_and_saveexec_b64 s[14:15], s[2:3]
	s_cbranch_execz .LBB0_29
; %bb.28:
	buffer_load_dword v12, off, s[28:31], 0 offset:364 ; 4-byte Folded Reload
	buffer_load_dword v13, off, s[28:31], 0 offset:368 ; 4-byte Folded Reload
	;; [unrolled: 1-line block ×8, first 2 shown]
	s_waitcnt vmcnt(4)
	v_mul_f64 v[4:5], v[14:15], v[60:61]
	s_waitcnt vmcnt(0)
	v_mul_f64 v[6:7], v[18:19], v[64:65]
	v_mul_f64 v[8:9], v[14:15], v[62:63]
	;; [unrolled: 1-line block ×3, first 2 shown]
	v_fma_f64 v[4:5], v[12:13], v[62:63], -v[4:5]
	v_fma_f64 v[6:7], v[16:17], v[66:67], -v[6:7]
	v_fma_f64 v[8:9], v[12:13], v[60:61], v[8:9]
	v_fma_f64 v[10:11], v[16:17], v[64:65], v[10:11]
	v_add_f64 v[18:19], v[2:3], v[4:5]
	v_add_f64 v[12:13], v[4:5], v[6:7]
	v_add_f64 v[4:5], v[4:5], -v[6:7]
	v_add_f64 v[14:15], v[8:9], v[10:11]
	v_add_f64 v[16:17], v[8:9], -v[10:11]
	v_add_f64 v[8:9], v[0:1], v[8:9]
	v_fma_f64 v[12:13], v[12:13], -0.5, v[2:3]
	v_add_f64 v[2:3], v[18:19], v[6:7]
	v_fma_f64 v[14:15], v[14:15], -0.5, v[0:1]
	v_add_f64 v[0:1], v[8:9], v[10:11]
	v_fma_f64 v[10:11], v[16:17], s[6:7], v[12:13]
	v_fma_f64 v[6:7], v[16:17], s[4:5], v[12:13]
	;; [unrolled: 1-line block ×4, first 2 shown]
	ds_write_b128 v92, v[0:3] offset:6000
	ds_write_b128 v92, v[8:11] offset:12400
	;; [unrolled: 1-line block ×3, first 2 shown]
.LBB0_29:
	s_or_b64 exec, exec, s[14:15]
	buffer_load_dword v0, off, s[28:31], 0 offset:36 ; 4-byte Folded Reload
	buffer_load_dword v1, off, s[28:31], 0 offset:40 ; 4-byte Folded Reload
	s_waitcnt vmcnt(0) lgkmcnt(0)
	s_barrier
	v_mad_u64_u32 v[16:17], s[2:3], s8, v93, 0
	v_mov_b32_e32 v24, s13
	s_mul_hi_u32 s7, s8, 0xfffffc8b
	s_mul_i32 s6, s9, 0xfffffc8b
	s_sub_i32 s7, s7, s8
	s_add_i32 s7, s7, s6
	s_mul_i32 s6, s8, 0xfffffc8b
	s_lshl_b64 s[6:7], s[6:7], 4
	ds_read_b128 v[4:7], v92 offset:1200
	v_mov_b32_e32 v11, v0
	ds_read_b128 v[0:3], v92
	buffer_load_dword v18, off, s[28:31], 0 offset:236 ; 4-byte Folded Reload
	buffer_load_dword v19, off, s[28:31], 0 offset:240 ; 4-byte Folded Reload
	;; [unrolled: 1-line block ×4, first 2 shown]
	v_mad_u64_u32 v[12:13], s[2:3], s10, v11, 0
	v_mov_b32_e32 v8, v13
	s_waitcnt vmcnt(0) lgkmcnt(0)
	v_mul_f64 v[9:10], v[20:21], v[2:3]
	v_mad_u64_u32 v[13:14], s[2:3], s11, v11, v[8:9]
	v_mul_f64 v[14:15], v[20:21], v[0:1]
	v_mov_b32_e32 v8, v17
	v_fma_f64 v[0:1], v[18:19], v[0:1], v[9:10]
	s_mov_b32 s2, 0xb4e81b4f
	s_mov_b32 s3, 0x3f4b4e81
	v_fma_f64 v[2:3], v[18:19], v[2:3], -v[14:15]
	v_mad_u64_u32 v[14:15], s[4:5], s9, v93, v[8:9]
	ds_read_b128 v[8:11], v92 offset:3840
	v_lshlrev_b64 v[18:19], 4, v[12:13]
	v_mov_b32_e32 v17, v14
	ds_read_b128 v[12:15], v92 offset:2400
	buffer_load_dword v25, off, s[28:31], 0 offset:4 ; 4-byte Folded Reload
	buffer_load_dword v26, off, s[28:31], 0 offset:8 ; 4-byte Folded Reload
	;; [unrolled: 1-line block ×4, first 2 shown]
	v_mul_f64 v[0:1], v[0:1], s[2:3]
	v_mul_f64 v[2:3], v[2:3], s[2:3]
	v_add_co_u32_e32 v18, vcc, s12, v18
	v_lshlrev_b64 v[16:17], 4, v[16:17]
	v_addc_co_u32_e32 v19, vcc, v24, v19, vcc
	v_add_co_u32_e32 v24, vcc, v18, v16
	s_mul_i32 s4, s9, 0xf0
	s_mul_hi_u32 s5, s8, 0xf0
	s_add_i32 s5, s5, s4
	s_mul_i32 s4, s8, 0xf0
	s_lshl_b64 s[4:5], s[4:5], 4
	v_mov_b32_e32 v38, s5
	s_waitcnt vmcnt(0) lgkmcnt(1)
	v_mul_f64 v[20:21], v[27:28], v[10:11]
	v_mul_f64 v[22:23], v[27:28], v[8:9]
	v_fma_f64 v[8:9], v[25:26], v[8:9], v[20:21]
	v_fma_f64 v[10:11], v[25:26], v[10:11], -v[22:23]
	v_addc_co_u32_e32 v25, vcc, v19, v17, vcc
	global_store_dwordx4 v[24:25], v[0:3], off
	ds_read_b128 v[0:3], v92 offset:7680
	ds_read_b128 v[16:19], v92 offset:8880
	buffer_load_dword v30, off, s[28:31], 0 offset:44 ; 4-byte Folded Reload
	buffer_load_dword v31, off, s[28:31], 0 offset:48 ; 4-byte Folded Reload
	;; [unrolled: 1-line block ×4, first 2 shown]
	ds_read_b128 v[20:23], v92 offset:11520
	v_mul_f64 v[8:9], v[8:9], s[2:3]
	v_mul_f64 v[10:11], v[10:11], s[2:3]
	v_add_co_u32_e32 v34, vcc, s4, v24
	v_addc_co_u32_e32 v35, vcc, v25, v38, vcc
	s_waitcnt vmcnt(0) lgkmcnt(2)
	v_mul_f64 v[26:27], v[32:33], v[2:3]
	v_mul_f64 v[28:29], v[32:33], v[0:1]
	v_fma_f64 v[26:27], v[30:31], v[0:1], v[26:27]
	v_fma_f64 v[28:29], v[30:31], v[2:3], -v[28:29]
	ds_read_b128 v[0:3], v92 offset:10080
	buffer_load_dword v39, off, s[28:31], 0 offset:20 ; 4-byte Folded Reload
	buffer_load_dword v40, off, s[28:31], 0 offset:24 ; 4-byte Folded Reload
	;; [unrolled: 1-line block ×4, first 2 shown]
	s_waitcnt vmcnt(0) lgkmcnt(1)
	v_mul_f64 v[30:31], v[41:42], v[22:23]
	v_mul_f64 v[32:33], v[41:42], v[20:21]
	global_store_dwordx4 v[34:35], v[8:11], off
	v_add_co_u32_e32 v34, vcc, s4, v34
	v_mul_f64 v[8:9], v[26:27], s[2:3]
	ds_read_b128 v[24:27], v92 offset:15360
	v_mul_f64 v[10:11], v[28:29], s[2:3]
	v_fma_f64 v[28:29], v[39:40], v[20:21], v[30:31]
	v_fma_f64 v[30:31], v[39:40], v[22:23], -v[32:33]
	ds_read_b128 v[20:23], v92 offset:16560
	buffer_load_dword v39, off, s[28:31], 0 offset:60 ; 4-byte Folded Reload
	buffer_load_dword v40, off, s[28:31], 0 offset:64 ; 4-byte Folded Reload
	;; [unrolled: 1-line block ×4, first 2 shown]
	v_addc_co_u32_e32 v35, vcc, v35, v38, vcc
	global_store_dwordx4 v[34:35], v[8:11], off
	s_nop 0
	v_mul_f64 v[8:9], v[28:29], s[2:3]
	v_mul_f64 v[10:11], v[30:31], s[2:3]
	s_waitcnt vmcnt(1) lgkmcnt(1)
	v_mul_f64 v[32:33], v[41:42], v[26:27]
	v_mul_f64 v[36:37], v[41:42], v[24:25]
	v_fma_f64 v[24:25], v[39:40], v[24:25], v[32:33]
	v_fma_f64 v[26:27], v[39:40], v[26:27], -v[36:37]
	buffer_load_dword v39, off, s[28:31], 0 offset:76 ; 4-byte Folded Reload
	buffer_load_dword v40, off, s[28:31], 0 offset:80 ; 4-byte Folded Reload
	buffer_load_dword v41, off, s[28:31], 0 offset:84 ; 4-byte Folded Reload
	buffer_load_dword v42, off, s[28:31], 0 offset:88 ; 4-byte Folded Reload
	v_add_co_u32_e32 v32, vcc, s4, v34
	v_addc_co_u32_e32 v33, vcc, v35, v38, vcc
	global_store_dwordx4 v[32:33], v[8:11], off
	v_mul_f64 v[24:25], v[24:25], s[2:3]
	v_mul_f64 v[26:27], v[26:27], s[2:3]
	s_waitcnt vmcnt(1)
	v_mul_f64 v[28:29], v[41:42], v[6:7]
	v_mul_f64 v[30:31], v[41:42], v[4:5]
	v_fma_f64 v[8:9], v[39:40], v[4:5], v[28:29]
	v_add_co_u32_e32 v28, vcc, s4, v32
	v_addc_co_u32_e32 v29, vcc, v33, v38, vcc
	global_store_dwordx4 v[28:29], v[24:27], off
	v_fma_f64 v[10:11], v[39:40], v[6:7], -v[30:31]
	ds_read_b128 v[4:7], v92 offset:5040
	ds_read_b128 v[24:27], v92 offset:6240
	buffer_load_dword v34, off, s[28:31], 0 offset:92 ; 4-byte Folded Reload
	buffer_load_dword v35, off, s[28:31], 0 offset:96 ; 4-byte Folded Reload
	buffer_load_dword v36, off, s[28:31], 0 offset:100 ; 4-byte Folded Reload
	buffer_load_dword v37, off, s[28:31], 0 offset:104 ; 4-byte Folded Reload
	v_mul_f64 v[8:9], v[8:9], s[2:3]
	v_mov_b32_e32 v39, s7
	v_add_co_u32_e32 v28, vcc, s6, v28
	v_mul_f64 v[10:11], v[10:11], s[2:3]
	v_addc_co_u32_e32 v29, vcc, v29, v39, vcc
	s_waitcnt vmcnt(0) lgkmcnt(1)
	v_mul_f64 v[30:31], v[36:37], v[6:7]
	v_mul_f64 v[32:33], v[36:37], v[4:5]
	v_fma_f64 v[4:5], v[34:35], v[4:5], v[30:31]
	v_fma_f64 v[6:7], v[34:35], v[6:7], -v[32:33]
	buffer_load_dword v34, off, s[28:31], 0 offset:124 ; 4-byte Folded Reload
	buffer_load_dword v35, off, s[28:31], 0 offset:128 ; 4-byte Folded Reload
	;; [unrolled: 1-line block ×4, first 2 shown]
	v_mul_f64 v[4:5], v[4:5], s[2:3]
	global_store_dwordx4 v[28:29], v[8:11], off
	ds_read_b128 v[8:11], v92 offset:12720
	v_mul_f64 v[6:7], v[6:7], s[2:3]
	v_add_co_u32_e32 v28, vcc, s4, v28
	v_addc_co_u32_e32 v29, vcc, v29, v38, vcc
	s_waitcnt vmcnt(1)
	v_mul_f64 v[30:31], v[36:37], v[18:19]
	v_mul_f64 v[32:33], v[36:37], v[16:17]
	v_fma_f64 v[30:31], v[34:35], v[16:17], v[30:31]
	v_fma_f64 v[32:33], v[34:35], v[18:19], -v[32:33]
	ds_read_b128 v[16:19], v92 offset:13920
	buffer_load_dword v40, off, s[28:31], 0 offset:108 ; 4-byte Folded Reload
	buffer_load_dword v41, off, s[28:31], 0 offset:112 ; 4-byte Folded Reload
	buffer_load_dword v42, off, s[28:31], 0 offset:116 ; 4-byte Folded Reload
	buffer_load_dword v43, off, s[28:31], 0 offset:120 ; 4-byte Folded Reload
	s_waitcnt vmcnt(0) lgkmcnt(1)
	v_mul_f64 v[34:35], v[42:43], v[10:11]
	v_mul_f64 v[36:37], v[42:43], v[8:9]
	global_store_dwordx4 v[28:29], v[4:7], off
	v_add_co_u32_e32 v28, vcc, s4, v28
	v_mul_f64 v[4:5], v[30:31], s[2:3]
	v_mul_f64 v[6:7], v[32:33], s[2:3]
	v_addc_co_u32_e32 v29, vcc, v29, v38, vcc
	v_fma_f64 v[8:9], v[40:41], v[8:9], v[34:35]
	v_fma_f64 v[10:11], v[40:41], v[10:11], -v[36:37]
	buffer_load_dword v34, off, s[28:31], 0 offset:140 ; 4-byte Folded Reload
	buffer_load_dword v35, off, s[28:31], 0 offset:144 ; 4-byte Folded Reload
	;; [unrolled: 1-line block ×4, first 2 shown]
	s_waitcnt vmcnt(0)
	v_mul_f64 v[30:31], v[36:37], v[22:23]
	v_mul_f64 v[32:33], v[36:37], v[20:21]
	global_store_dwordx4 v[28:29], v[4:7], off
	v_add_co_u32_e32 v28, vcc, s4, v28
	v_mul_f64 v[4:5], v[8:9], s[2:3]
	v_mul_f64 v[6:7], v[10:11], s[2:3]
	v_addc_co_u32_e32 v29, vcc, v29, v38, vcc
	v_fma_f64 v[8:9], v[34:35], v[20:21], v[30:31]
	v_fma_f64 v[10:11], v[34:35], v[22:23], -v[32:33]
	buffer_load_dword v30, off, s[28:31], 0 offset:156 ; 4-byte Folded Reload
	buffer_load_dword v31, off, s[28:31], 0 offset:160 ; 4-byte Folded Reload
	;; [unrolled: 1-line block ×4, first 2 shown]
	s_waitcnt vmcnt(0)
	v_mul_f64 v[20:21], v[32:33], v[14:15]
	v_mul_f64 v[22:23], v[32:33], v[12:13]
	global_store_dwordx4 v[28:29], v[4:7], off
	s_nop 0
	v_mul_f64 v[4:5], v[8:9], s[2:3]
	v_mul_f64 v[6:7], v[10:11], s[2:3]
	v_fma_f64 v[8:9], v[30:31], v[12:13], v[20:21]
	v_fma_f64 v[10:11], v[30:31], v[14:15], -v[22:23]
	buffer_load_dword v30, off, s[28:31], 0 offset:188 ; 4-byte Folded Reload
	buffer_load_dword v31, off, s[28:31], 0 offset:192 ; 4-byte Folded Reload
	;; [unrolled: 1-line block ×4, first 2 shown]
	v_add_co_u32_e32 v20, vcc, s4, v28
	v_addc_co_u32_e32 v21, vcc, v29, v38, vcc
	global_store_dwordx4 v[20:21], v[4:7], off
	v_add_co_u32_e32 v20, vcc, s6, v20
	v_mul_f64 v[4:5], v[8:9], s[2:3]
	v_mul_f64 v[6:7], v[10:11], s[2:3]
	v_addc_co_u32_e32 v21, vcc, v21, v39, vcc
	s_waitcnt vmcnt(1)
	v_mul_f64 v[12:13], v[32:33], v[26:27]
	v_mul_f64 v[14:15], v[32:33], v[24:25]
	v_fma_f64 v[8:9], v[30:31], v[24:25], v[12:13]
	v_fma_f64 v[10:11], v[30:31], v[26:27], -v[14:15]
	buffer_load_dword v22, off, s[28:31], 0 offset:172 ; 4-byte Folded Reload
	buffer_load_dword v23, off, s[28:31], 0 offset:176 ; 4-byte Folded Reload
	;; [unrolled: 1-line block ×4, first 2 shown]
	s_waitcnt vmcnt(0)
	v_mul_f64 v[12:13], v[24:25], v[2:3]
	global_store_dwordx4 v[20:21], v[4:7], off
	v_mul_f64 v[14:15], v[24:25], v[0:1]
	v_mul_f64 v[4:5], v[8:9], s[2:3]
	;; [unrolled: 1-line block ×3, first 2 shown]
	ds_read_b128 v[8:11], v92 offset:17760
	buffer_load_dword v26, off, s[28:31], 0 offset:204 ; 4-byte Folded Reload
	buffer_load_dword v27, off, s[28:31], 0 offset:208 ; 4-byte Folded Reload
	;; [unrolled: 1-line block ×4, first 2 shown]
	v_add_co_u32_e32 v20, vcc, s4, v20
	v_fma_f64 v[0:1], v[22:23], v[0:1], v[12:13]
	v_fma_f64 v[2:3], v[22:23], v[2:3], -v[14:15]
	v_addc_co_u32_e32 v21, vcc, v21, v38, vcc
	v_mul_f64 v[0:1], v[0:1], s[2:3]
	v_mul_f64 v[2:3], v[2:3], s[2:3]
	s_waitcnt vmcnt(0) lgkmcnt(1)
	v_mul_f64 v[12:13], v[28:29], v[18:19]
	v_mul_f64 v[14:15], v[28:29], v[16:17]
	buffer_load_dword v28, off, s[28:31], 0 offset:220 ; 4-byte Folded Reload
	buffer_load_dword v29, off, s[28:31], 0 offset:224 ; 4-byte Folded Reload
	buffer_load_dword v30, off, s[28:31], 0 offset:228 ; 4-byte Folded Reload
	buffer_load_dword v31, off, s[28:31], 0 offset:232 ; 4-byte Folded Reload
	s_waitcnt vmcnt(0) lgkmcnt(0)
	v_mul_f64 v[22:23], v[30:31], v[10:11]
	v_mul_f64 v[24:25], v[30:31], v[8:9]
	global_store_dwordx4 v[20:21], v[4:7], off
	v_fma_f64 v[8:9], v[28:29], v[8:9], v[22:23]
	v_fma_f64 v[4:5], v[26:27], v[16:17], v[12:13]
	v_fma_f64 v[6:7], v[26:27], v[18:19], -v[14:15]
	v_fma_f64 v[10:11], v[28:29], v[10:11], -v[24:25]
	v_add_co_u32_e32 v12, vcc, s4, v20
	v_addc_co_u32_e32 v13, vcc, v21, v38, vcc
	v_mul_f64 v[8:9], v[8:9], s[2:3]
	v_mul_f64 v[4:5], v[4:5], s[2:3]
	v_mul_f64 v[6:7], v[6:7], s[2:3]
	v_mul_f64 v[10:11], v[10:11], s[2:3]
	global_store_dwordx4 v[12:13], v[0:3], off
	s_nop 0
	v_add_co_u32_e32 v0, vcc, s4, v12
	v_addc_co_u32_e32 v1, vcc, v13, v38, vcc
	global_store_dwordx4 v[0:1], v[4:7], off
	v_add_co_u32_e32 v0, vcc, s4, v0
	v_addc_co_u32_e32 v1, vcc, v1, v38, vcc
	global_store_dwordx4 v[0:1], v[8:11], off
	s_and_b64 exec, exec, s[0:1]
	s_cbranch_execz .LBB0_31
; %bb.30:
	global_load_dwordx4 v[2:5], v[82:83], off offset:3600
	ds_read_b128 v[6:9], v95 offset:3600
	v_add_co_u32_e32 v12, vcc, s6, v0
	s_movk_i32 s0, 0x1000
	v_mov_b32_e32 v16, s5
	s_waitcnt vmcnt(0) lgkmcnt(0)
	v_mul_f64 v[10:11], v[8:9], v[4:5]
	v_mul_f64 v[4:5], v[6:7], v[4:5]
	v_fma_f64 v[6:7], v[6:7], v[2:3], v[10:11]
	v_fma_f64 v[4:5], v[2:3], v[8:9], -v[4:5]
	v_mov_b32_e32 v8, s7
	v_addc_co_u32_e32 v13, vcc, v1, v8, vcc
	v_add_co_u32_e32 v0, vcc, s0, v82
	v_addc_co_u32_e32 v1, vcc, 0, v83, vcc
	v_mul_f64 v[2:3], v[6:7], s[2:3]
	v_mul_f64 v[4:5], v[4:5], s[2:3]
	s_movk_i32 s0, 0x2000
	global_store_dwordx4 v[12:13], v[2:5], off
	global_load_dwordx4 v[0:3], v[0:1], off offset:3344
	ds_read_b128 v[4:7], v92 offset:7440
	ds_read_b128 v[8:11], v92 offset:11280
	s_waitcnt vmcnt(0) lgkmcnt(1)
	v_mul_f64 v[14:15], v[6:7], v[2:3]
	v_mul_f64 v[2:3], v[4:5], v[2:3]
	v_fma_f64 v[4:5], v[4:5], v[0:1], v[14:15]
	v_fma_f64 v[2:3], v[0:1], v[6:7], -v[2:3]
	v_mul_f64 v[0:1], v[4:5], s[2:3]
	v_mul_f64 v[2:3], v[2:3], s[2:3]
	v_add_co_u32_e32 v4, vcc, s0, v82
	v_addc_co_u32_e32 v5, vcc, 0, v83, vcc
	v_add_co_u32_e32 v6, vcc, s4, v12
	v_addc_co_u32_e32 v7, vcc, v13, v16, vcc
	global_store_dwordx4 v[6:7], v[0:3], off
	global_load_dwordx4 v[0:3], v[4:5], off offset:3088
	s_movk_i32 s0, 0x3000
	s_waitcnt vmcnt(0) lgkmcnt(0)
	v_mul_f64 v[4:5], v[10:11], v[2:3]
	v_mul_f64 v[2:3], v[8:9], v[2:3]
	v_fma_f64 v[4:5], v[8:9], v[0:1], v[4:5]
	v_fma_f64 v[2:3], v[0:1], v[10:11], -v[2:3]
	v_mul_f64 v[0:1], v[4:5], s[2:3]
	v_mul_f64 v[2:3], v[2:3], s[2:3]
	v_add_co_u32_e32 v4, vcc, s0, v82
	v_addc_co_u32_e32 v5, vcc, 0, v83, vcc
	v_add_co_u32_e32 v12, vcc, s4, v6
	v_addc_co_u32_e32 v13, vcc, v7, v16, vcc
	global_store_dwordx4 v[12:13], v[0:3], off
	global_load_dwordx4 v[0:3], v[4:5], off offset:2832
	ds_read_b128 v[4:7], v92 offset:15120
	ds_read_b128 v[8:11], v92 offset:18960
	s_movk_i32 s0, 0x4000
	s_waitcnt vmcnt(0) lgkmcnt(1)
	v_mul_f64 v[14:15], v[6:7], v[2:3]
	v_mul_f64 v[2:3], v[4:5], v[2:3]
	v_fma_f64 v[4:5], v[4:5], v[0:1], v[14:15]
	v_fma_f64 v[2:3], v[0:1], v[6:7], -v[2:3]
	v_mul_f64 v[0:1], v[4:5], s[2:3]
	v_mul_f64 v[2:3], v[2:3], s[2:3]
	v_add_co_u32_e32 v4, vcc, s0, v82
	v_addc_co_u32_e32 v5, vcc, 0, v83, vcc
	v_add_co_u32_e32 v6, vcc, s4, v12
	v_addc_co_u32_e32 v7, vcc, v13, v16, vcc
	global_store_dwordx4 v[6:7], v[0:3], off
	global_load_dwordx4 v[0:3], v[4:5], off offset:2576
	s_waitcnt vmcnt(0) lgkmcnt(0)
	v_mul_f64 v[4:5], v[10:11], v[2:3]
	v_mul_f64 v[2:3], v[8:9], v[2:3]
	v_fma_f64 v[4:5], v[8:9], v[0:1], v[4:5]
	v_fma_f64 v[2:3], v[0:1], v[10:11], -v[2:3]
	v_mul_f64 v[0:1], v[4:5], s[2:3]
	v_mul_f64 v[2:3], v[2:3], s[2:3]
	v_add_co_u32_e32 v4, vcc, s4, v6
	v_addc_co_u32_e32 v5, vcc, v7, v16, vcc
	global_store_dwordx4 v[4:5], v[0:3], off
.LBB0_31:
	s_endpgm
	.section	.rodata,"a",@progbits
	.p2align	6, 0x0
	.amdhsa_kernel bluestein_single_fwd_len1200_dim1_dp_op_CI_CI
		.amdhsa_group_segment_fixed_size 57600
		.amdhsa_private_segment_fixed_size 400
		.amdhsa_kernarg_size 104
		.amdhsa_user_sgpr_count 6
		.amdhsa_user_sgpr_private_segment_buffer 1
		.amdhsa_user_sgpr_dispatch_ptr 0
		.amdhsa_user_sgpr_queue_ptr 0
		.amdhsa_user_sgpr_kernarg_segment_ptr 1
		.amdhsa_user_sgpr_dispatch_id 0
		.amdhsa_user_sgpr_flat_scratch_init 0
		.amdhsa_user_sgpr_private_segment_size 0
		.amdhsa_uses_dynamic_stack 0
		.amdhsa_system_sgpr_private_segment_wavefront_offset 1
		.amdhsa_system_sgpr_workgroup_id_x 1
		.amdhsa_system_sgpr_workgroup_id_y 0
		.amdhsa_system_sgpr_workgroup_id_z 0
		.amdhsa_system_sgpr_workgroup_info 0
		.amdhsa_system_vgpr_workitem_id 0
		.amdhsa_next_free_vgpr 256
		.amdhsa_next_free_sgpr 32
		.amdhsa_reserve_vcc 1
		.amdhsa_reserve_flat_scratch 0
		.amdhsa_float_round_mode_32 0
		.amdhsa_float_round_mode_16_64 0
		.amdhsa_float_denorm_mode_32 3
		.amdhsa_float_denorm_mode_16_64 3
		.amdhsa_dx10_clamp 1
		.amdhsa_ieee_mode 1
		.amdhsa_fp16_overflow 0
		.amdhsa_exception_fp_ieee_invalid_op 0
		.amdhsa_exception_fp_denorm_src 0
		.amdhsa_exception_fp_ieee_div_zero 0
		.amdhsa_exception_fp_ieee_overflow 0
		.amdhsa_exception_fp_ieee_underflow 0
		.amdhsa_exception_fp_ieee_inexact 0
		.amdhsa_exception_int_div_zero 0
	.end_amdhsa_kernel
	.text
.Lfunc_end0:
	.size	bluestein_single_fwd_len1200_dim1_dp_op_CI_CI, .Lfunc_end0-bluestein_single_fwd_len1200_dim1_dp_op_CI_CI
                                        ; -- End function
	.section	.AMDGPU.csdata,"",@progbits
; Kernel info:
; codeLenInByte = 24732
; NumSgprs: 36
; NumVgprs: 256
; ScratchSize: 400
; MemoryBound: 0
; FloatMode: 240
; IeeeMode: 1
; LDSByteSize: 57600 bytes/workgroup (compile time only)
; SGPRBlocks: 4
; VGPRBlocks: 63
; NumSGPRsForWavesPerEU: 36
; NumVGPRsForWavesPerEU: 256
; Occupancy: 1
; WaveLimiterHint : 1
; COMPUTE_PGM_RSRC2:SCRATCH_EN: 1
; COMPUTE_PGM_RSRC2:USER_SGPR: 6
; COMPUTE_PGM_RSRC2:TRAP_HANDLER: 0
; COMPUTE_PGM_RSRC2:TGID_X_EN: 1
; COMPUTE_PGM_RSRC2:TGID_Y_EN: 0
; COMPUTE_PGM_RSRC2:TGID_Z_EN: 0
; COMPUTE_PGM_RSRC2:TIDIG_COMP_CNT: 0
	.type	__hip_cuid_bd5e581de21532a0,@object ; @__hip_cuid_bd5e581de21532a0
	.section	.bss,"aw",@nobits
	.globl	__hip_cuid_bd5e581de21532a0
__hip_cuid_bd5e581de21532a0:
	.byte	0                               ; 0x0
	.size	__hip_cuid_bd5e581de21532a0, 1

	.ident	"AMD clang version 19.0.0git (https://github.com/RadeonOpenCompute/llvm-project roc-6.4.0 25133 c7fe45cf4b819c5991fe208aaa96edf142730f1d)"
	.section	".note.GNU-stack","",@progbits
	.addrsig
	.addrsig_sym __hip_cuid_bd5e581de21532a0
	.amdgpu_metadata
---
amdhsa.kernels:
  - .args:
      - .actual_access:  read_only
        .address_space:  global
        .offset:         0
        .size:           8
        .value_kind:     global_buffer
      - .actual_access:  read_only
        .address_space:  global
        .offset:         8
        .size:           8
        .value_kind:     global_buffer
      - .actual_access:  read_only
        .address_space:  global
        .offset:         16
        .size:           8
        .value_kind:     global_buffer
      - .actual_access:  read_only
        .address_space:  global
        .offset:         24
        .size:           8
        .value_kind:     global_buffer
      - .actual_access:  read_only
        .address_space:  global
        .offset:         32
        .size:           8
        .value_kind:     global_buffer
      - .offset:         40
        .size:           8
        .value_kind:     by_value
      - .address_space:  global
        .offset:         48
        .size:           8
        .value_kind:     global_buffer
      - .address_space:  global
        .offset:         56
        .size:           8
        .value_kind:     global_buffer
      - .address_space:  global
        .offset:         64
        .size:           8
        .value_kind:     global_buffer
      - .address_space:  global
        .offset:         72
        .size:           8
        .value_kind:     global_buffer
      - .offset:         80
        .size:           4
        .value_kind:     by_value
      - .address_space:  global
        .offset:         88
        .size:           8
        .value_kind:     global_buffer
      - .address_space:  global
        .offset:         96
        .size:           8
        .value_kind:     global_buffer
    .group_segment_fixed_size: 57600
    .kernarg_segment_align: 8
    .kernarg_segment_size: 104
    .language:       OpenCL C
    .language_version:
      - 2
      - 0
    .max_flat_workgroup_size: 225
    .name:           bluestein_single_fwd_len1200_dim1_dp_op_CI_CI
    .private_segment_fixed_size: 400
    .sgpr_count:     36
    .sgpr_spill_count: 0
    .symbol:         bluestein_single_fwd_len1200_dim1_dp_op_CI_CI.kd
    .uniform_work_group_size: 1
    .uses_dynamic_stack: false
    .vgpr_count:     256
    .vgpr_spill_count: 99
    .wavefront_size: 64
amdhsa.target:   amdgcn-amd-amdhsa--gfx906
amdhsa.version:
  - 1
  - 2
...

	.end_amdgpu_metadata
